;; amdgpu-corpus repo=ROCm/rocFFT kind=compiled arch=gfx1201 opt=O3
	.text
	.amdgcn_target "amdgcn-amd-amdhsa--gfx1201"
	.amdhsa_code_object_version 6
	.protected	fft_rtc_back_len1248_factors_2_2_13_2_3_2_2_wgs_52_tpt_52_halfLds_dp_op_CI_CI_unitstride_sbrr_R2C_dirReg ; -- Begin function fft_rtc_back_len1248_factors_2_2_13_2_3_2_2_wgs_52_tpt_52_halfLds_dp_op_CI_CI_unitstride_sbrr_R2C_dirReg
	.globl	fft_rtc_back_len1248_factors_2_2_13_2_3_2_2_wgs_52_tpt_52_halfLds_dp_op_CI_CI_unitstride_sbrr_R2C_dirReg
	.p2align	8
	.type	fft_rtc_back_len1248_factors_2_2_13_2_3_2_2_wgs_52_tpt_52_halfLds_dp_op_CI_CI_unitstride_sbrr_R2C_dirReg,@function
fft_rtc_back_len1248_factors_2_2_13_2_3_2_2_wgs_52_tpt_52_halfLds_dp_op_CI_CI_unitstride_sbrr_R2C_dirReg: ; @fft_rtc_back_len1248_factors_2_2_13_2_3_2_2_wgs_52_tpt_52_halfLds_dp_op_CI_CI_unitstride_sbrr_R2C_dirReg
; %bb.0:
	s_clause 0x2
	s_load_b128 s[8:11], s[0:1], 0x0
	s_load_b128 s[4:7], s[0:1], 0x58
	;; [unrolled: 1-line block ×3, first 2 shown]
	v_mul_u32_u24_e32 v1, 0x4ed, v0
	v_mov_b32_e32 v3, 0
	s_delay_alu instid0(VALU_DEP_2) | instskip(NEXT) | instid1(VALU_DEP_1)
	v_lshrrev_b32_e32 v1, 16, v1
	v_add_nc_u32_e32 v5, ttmp9, v1
	v_mov_b32_e32 v1, 0
	v_mov_b32_e32 v2, 0
	;; [unrolled: 1-line block ×3, first 2 shown]
	s_wait_kmcnt 0x0
	v_cmp_lt_u64_e64 s2, s[10:11], 2
	s_delay_alu instid0(VALU_DEP_1)
	s_and_b32 vcc_lo, exec_lo, s2
	s_cbranch_vccnz .LBB0_8
; %bb.1:
	s_load_b64 s[2:3], s[0:1], 0x10
	v_mov_b32_e32 v1, 0
	v_mov_b32_e32 v2, 0
	s_add_nc_u64 s[16:17], s[14:15], 8
	s_add_nc_u64 s[18:19], s[12:13], 8
	s_mov_b64 s[20:21], 1
	s_delay_alu instid0(VALU_DEP_1)
	v_dual_mov_b32 v119, v2 :: v_dual_mov_b32 v118, v1
	s_wait_kmcnt 0x0
	s_add_nc_u64 s[22:23], s[2:3], 8
	s_mov_b32 s3, 0
.LBB0_2:                                ; =>This Inner Loop Header: Depth=1
	s_load_b64 s[24:25], s[22:23], 0x0
                                        ; implicit-def: $vgpr120_vgpr121
	s_mov_b32 s2, exec_lo
	s_wait_kmcnt 0x0
	v_or_b32_e32 v4, s25, v6
	s_delay_alu instid0(VALU_DEP_1)
	v_cmpx_ne_u64_e32 0, v[3:4]
	s_wait_alu 0xfffe
	s_xor_b32 s26, exec_lo, s2
	s_cbranch_execz .LBB0_4
; %bb.3:                                ;   in Loop: Header=BB0_2 Depth=1
	s_cvt_f32_u32 s2, s24
	s_cvt_f32_u32 s27, s25
	s_sub_nc_u64 s[30:31], 0, s[24:25]
	s_wait_alu 0xfffe
	s_delay_alu instid0(SALU_CYCLE_1) | instskip(SKIP_1) | instid1(SALU_CYCLE_2)
	s_fmamk_f32 s2, s27, 0x4f800000, s2
	s_wait_alu 0xfffe
	v_s_rcp_f32 s2, s2
	s_delay_alu instid0(TRANS32_DEP_1) | instskip(SKIP_1) | instid1(SALU_CYCLE_2)
	s_mul_f32 s2, s2, 0x5f7ffffc
	s_wait_alu 0xfffe
	s_mul_f32 s27, s2, 0x2f800000
	s_wait_alu 0xfffe
	s_delay_alu instid0(SALU_CYCLE_2) | instskip(SKIP_1) | instid1(SALU_CYCLE_2)
	s_trunc_f32 s27, s27
	s_wait_alu 0xfffe
	s_fmamk_f32 s2, s27, 0xcf800000, s2
	s_cvt_u32_f32 s29, s27
	s_wait_alu 0xfffe
	s_delay_alu instid0(SALU_CYCLE_1) | instskip(SKIP_1) | instid1(SALU_CYCLE_2)
	s_cvt_u32_f32 s28, s2
	s_wait_alu 0xfffe
	s_mul_u64 s[34:35], s[30:31], s[28:29]
	s_wait_alu 0xfffe
	s_mul_hi_u32 s37, s28, s35
	s_mul_i32 s36, s28, s35
	s_mul_hi_u32 s2, s28, s34
	s_mul_i32 s33, s29, s34
	s_wait_alu 0xfffe
	s_add_nc_u64 s[36:37], s[2:3], s[36:37]
	s_mul_hi_u32 s27, s29, s34
	s_mul_hi_u32 s38, s29, s35
	s_add_co_u32 s2, s36, s33
	s_wait_alu 0xfffe
	s_add_co_ci_u32 s2, s37, s27
	s_mul_i32 s34, s29, s35
	s_add_co_ci_u32 s35, s38, 0
	s_wait_alu 0xfffe
	s_add_nc_u64 s[34:35], s[2:3], s[34:35]
	s_wait_alu 0xfffe
	v_add_co_u32 v4, s2, s28, s34
	s_delay_alu instid0(VALU_DEP_1) | instskip(SKIP_1) | instid1(VALU_DEP_1)
	s_cmp_lg_u32 s2, 0
	s_add_co_ci_u32 s29, s29, s35
	v_readfirstlane_b32 s28, v4
	s_wait_alu 0xfffe
	s_delay_alu instid0(VALU_DEP_1)
	s_mul_u64 s[30:31], s[30:31], s[28:29]
	s_wait_alu 0xfffe
	s_mul_hi_u32 s35, s28, s31
	s_mul_i32 s34, s28, s31
	s_mul_hi_u32 s2, s28, s30
	s_mul_i32 s33, s29, s30
	s_wait_alu 0xfffe
	s_add_nc_u64 s[34:35], s[2:3], s[34:35]
	s_mul_hi_u32 s27, s29, s30
	s_mul_hi_u32 s28, s29, s31
	s_wait_alu 0xfffe
	s_add_co_u32 s2, s34, s33
	s_add_co_ci_u32 s2, s35, s27
	s_mul_i32 s30, s29, s31
	s_add_co_ci_u32 s31, s28, 0
	s_wait_alu 0xfffe
	s_add_nc_u64 s[30:31], s[2:3], s[30:31]
	s_wait_alu 0xfffe
	v_add_co_u32 v4, s2, v4, s30
	s_delay_alu instid0(VALU_DEP_1) | instskip(SKIP_1) | instid1(VALU_DEP_1)
	s_cmp_lg_u32 s2, 0
	s_add_co_ci_u32 s2, s29, s31
	v_mul_hi_u32 v13, v5, v4
	s_wait_alu 0xfffe
	v_mad_co_u64_u32 v[7:8], null, v5, s2, 0
	v_mad_co_u64_u32 v[9:10], null, v6, v4, 0
	;; [unrolled: 1-line block ×3, first 2 shown]
	s_delay_alu instid0(VALU_DEP_3) | instskip(SKIP_1) | instid1(VALU_DEP_4)
	v_add_co_u32 v4, vcc_lo, v13, v7
	s_wait_alu 0xfffd
	v_add_co_ci_u32_e32 v7, vcc_lo, 0, v8, vcc_lo
	s_delay_alu instid0(VALU_DEP_2) | instskip(SKIP_1) | instid1(VALU_DEP_2)
	v_add_co_u32 v4, vcc_lo, v4, v9
	s_wait_alu 0xfffd
	v_add_co_ci_u32_e32 v4, vcc_lo, v7, v10, vcc_lo
	s_wait_alu 0xfffd
	v_add_co_ci_u32_e32 v7, vcc_lo, 0, v12, vcc_lo
	s_delay_alu instid0(VALU_DEP_2) | instskip(SKIP_1) | instid1(VALU_DEP_2)
	v_add_co_u32 v4, vcc_lo, v4, v11
	s_wait_alu 0xfffd
	v_add_co_ci_u32_e32 v9, vcc_lo, 0, v7, vcc_lo
	s_delay_alu instid0(VALU_DEP_2) | instskip(SKIP_1) | instid1(VALU_DEP_3)
	v_mul_lo_u32 v10, s25, v4
	v_mad_co_u64_u32 v[7:8], null, s24, v4, 0
	v_mul_lo_u32 v11, s24, v9
	s_delay_alu instid0(VALU_DEP_2) | instskip(NEXT) | instid1(VALU_DEP_2)
	v_sub_co_u32 v7, vcc_lo, v5, v7
	v_add3_u32 v8, v8, v11, v10
	s_delay_alu instid0(VALU_DEP_1) | instskip(SKIP_1) | instid1(VALU_DEP_1)
	v_sub_nc_u32_e32 v10, v6, v8
	s_wait_alu 0xfffd
	v_subrev_co_ci_u32_e64 v10, s2, s25, v10, vcc_lo
	v_add_co_u32 v11, s2, v4, 2
	s_wait_alu 0xf1ff
	v_add_co_ci_u32_e64 v12, s2, 0, v9, s2
	v_sub_co_u32 v13, s2, v7, s24
	v_sub_co_ci_u32_e32 v8, vcc_lo, v6, v8, vcc_lo
	s_wait_alu 0xf1ff
	v_subrev_co_ci_u32_e64 v10, s2, 0, v10, s2
	s_delay_alu instid0(VALU_DEP_3) | instskip(NEXT) | instid1(VALU_DEP_3)
	v_cmp_le_u32_e32 vcc_lo, s24, v13
	v_cmp_eq_u32_e64 s2, s25, v8
	s_wait_alu 0xfffd
	v_cndmask_b32_e64 v13, 0, -1, vcc_lo
	v_cmp_le_u32_e32 vcc_lo, s25, v10
	s_wait_alu 0xfffd
	v_cndmask_b32_e64 v14, 0, -1, vcc_lo
	v_cmp_le_u32_e32 vcc_lo, s24, v7
	;; [unrolled: 3-line block ×3, first 2 shown]
	s_wait_alu 0xfffd
	v_cndmask_b32_e64 v15, 0, -1, vcc_lo
	v_cmp_eq_u32_e32 vcc_lo, s25, v10
	s_wait_alu 0xf1ff
	s_delay_alu instid0(VALU_DEP_2)
	v_cndmask_b32_e64 v7, v15, v7, s2
	s_wait_alu 0xfffd
	v_cndmask_b32_e32 v10, v14, v13, vcc_lo
	v_add_co_u32 v13, vcc_lo, v4, 1
	s_wait_alu 0xfffd
	v_add_co_ci_u32_e32 v14, vcc_lo, 0, v9, vcc_lo
	s_delay_alu instid0(VALU_DEP_3) | instskip(SKIP_1) | instid1(VALU_DEP_2)
	v_cmp_ne_u32_e32 vcc_lo, 0, v10
	s_wait_alu 0xfffd
	v_cndmask_b32_e32 v8, v14, v12, vcc_lo
	v_cndmask_b32_e32 v10, v13, v11, vcc_lo
	v_cmp_ne_u32_e32 vcc_lo, 0, v7
	s_wait_alu 0xfffd
	s_delay_alu instid0(VALU_DEP_2)
	v_dual_cndmask_b32 v121, v9, v8 :: v_dual_cndmask_b32 v120, v4, v10
.LBB0_4:                                ;   in Loop: Header=BB0_2 Depth=1
	s_wait_alu 0xfffe
	s_and_not1_saveexec_b32 s2, s26
	s_cbranch_execz .LBB0_6
; %bb.5:                                ;   in Loop: Header=BB0_2 Depth=1
	v_cvt_f32_u32_e32 v4, s24
	s_sub_co_i32 s26, 0, s24
	v_mov_b32_e32 v121, v3
	s_delay_alu instid0(VALU_DEP_2) | instskip(NEXT) | instid1(TRANS32_DEP_1)
	v_rcp_iflag_f32_e32 v4, v4
	v_mul_f32_e32 v4, 0x4f7ffffe, v4
	s_delay_alu instid0(VALU_DEP_1) | instskip(SKIP_1) | instid1(VALU_DEP_1)
	v_cvt_u32_f32_e32 v4, v4
	s_wait_alu 0xfffe
	v_mul_lo_u32 v7, s26, v4
	s_delay_alu instid0(VALU_DEP_1) | instskip(NEXT) | instid1(VALU_DEP_1)
	v_mul_hi_u32 v7, v4, v7
	v_add_nc_u32_e32 v4, v4, v7
	s_delay_alu instid0(VALU_DEP_1) | instskip(NEXT) | instid1(VALU_DEP_1)
	v_mul_hi_u32 v4, v5, v4
	v_mul_lo_u32 v7, v4, s24
	v_add_nc_u32_e32 v8, 1, v4
	s_delay_alu instid0(VALU_DEP_2) | instskip(NEXT) | instid1(VALU_DEP_1)
	v_sub_nc_u32_e32 v7, v5, v7
	v_subrev_nc_u32_e32 v9, s24, v7
	v_cmp_le_u32_e32 vcc_lo, s24, v7
	s_wait_alu 0xfffd
	s_delay_alu instid0(VALU_DEP_2) | instskip(NEXT) | instid1(VALU_DEP_1)
	v_dual_cndmask_b32 v7, v7, v9 :: v_dual_cndmask_b32 v4, v4, v8
	v_cmp_le_u32_e32 vcc_lo, s24, v7
	s_delay_alu instid0(VALU_DEP_2) | instskip(SKIP_1) | instid1(VALU_DEP_1)
	v_add_nc_u32_e32 v8, 1, v4
	s_wait_alu 0xfffd
	v_cndmask_b32_e32 v120, v4, v8, vcc_lo
.LBB0_6:                                ;   in Loop: Header=BB0_2 Depth=1
	s_wait_alu 0xfffe
	s_or_b32 exec_lo, exec_lo, s2
	v_mul_lo_u32 v4, v121, s24
	s_delay_alu instid0(VALU_DEP_2)
	v_mul_lo_u32 v9, v120, s25
	s_load_b64 s[26:27], s[18:19], 0x0
	v_mad_co_u64_u32 v[7:8], null, v120, s24, 0
	s_load_b64 s[24:25], s[16:17], 0x0
	s_add_nc_u64 s[20:21], s[20:21], 1
	s_add_nc_u64 s[16:17], s[16:17], 8
	s_wait_alu 0xfffe
	v_cmp_ge_u64_e64 s2, s[20:21], s[10:11]
	s_add_nc_u64 s[18:19], s[18:19], 8
	s_add_nc_u64 s[22:23], s[22:23], 8
	v_add3_u32 v4, v8, v9, v4
	v_sub_co_u32 v5, vcc_lo, v5, v7
	s_wait_alu 0xfffd
	s_delay_alu instid0(VALU_DEP_2) | instskip(SKIP_2) | instid1(VALU_DEP_1)
	v_sub_co_ci_u32_e32 v4, vcc_lo, v6, v4, vcc_lo
	s_and_b32 vcc_lo, exec_lo, s2
	s_wait_kmcnt 0x0
	v_mul_lo_u32 v6, s26, v4
	v_mul_lo_u32 v7, s27, v5
	v_mad_co_u64_u32 v[1:2], null, s26, v5, v[1:2]
	v_mul_lo_u32 v4, s24, v4
	v_mul_lo_u32 v8, s25, v5
	v_mad_co_u64_u32 v[118:119], null, s24, v5, v[118:119]
	s_delay_alu instid0(VALU_DEP_4) | instskip(NEXT) | instid1(VALU_DEP_2)
	v_add3_u32 v2, v7, v2, v6
	v_add3_u32 v119, v8, v119, v4
	s_wait_alu 0xfffe
	s_cbranch_vccnz .LBB0_9
; %bb.7:                                ;   in Loop: Header=BB0_2 Depth=1
	v_dual_mov_b32 v5, v120 :: v_dual_mov_b32 v6, v121
	s_branch .LBB0_2
.LBB0_8:
	v_dual_mov_b32 v119, v2 :: v_dual_mov_b32 v118, v1
	v_dual_mov_b32 v121, v6 :: v_dual_mov_b32 v120, v5
.LBB0_9:
	s_load_b64 s[0:1], s[0:1], 0x28
	v_mul_hi_u32 v3, 0x4ec4ec5, v0
	s_lshl_b64 s[10:11], s[10:11], 3
                                        ; implicit-def: $vgpr4
                                        ; implicit-def: $vgpr116
	s_clause 0x3
	scratch_store_b64 off, v[4:5], off
	; meta instruction
	scratch_store_b64 off, v[4:5], off offset:24
	; meta instruction
	; meta instruction
	;; [unrolled: 1-line block ×8, first 2 shown]
	scratch_store_b64 off, v[4:5], off offset:8
	; meta instruction
	scratch_store_b64 off, v[4:5], off offset:16
	s_wait_kmcnt 0x0
	v_cmp_gt_u64_e32 vcc_lo, s[0:1], v[120:121]
	v_cmp_le_u64_e64 s0, s[0:1], v[120:121]
	s_delay_alu instid0(VALU_DEP_1)
	s_and_saveexec_b32 s1, s0
	s_wait_alu 0xfffe
	s_xor_b32 s0, exec_lo, s1
	s_cbranch_execz .LBB0_11
; %bb.10:
	v_mul_u32_u24_e32 v1, 52, v3
                                        ; implicit-def: $vgpr3
	s_delay_alu instid0(VALU_DEP_1) | instskip(NEXT) | instid1(VALU_DEP_1)
	v_sub_nc_u32_e32 v116, v0, v1
	v_add_nc_u32_e32 v0, 52, v116
	v_add_nc_u32_e32 v113, 0x9c, v116
	;; [unrolled: 1-line block ×5, first 2 shown]
	scratch_store_b64 off, v[0:1], off      ; 8-byte Folded Spill
	v_add_nc_u32_e32 v0, 0x68, v116
	v_add_nc_u32_e32 v124, 0x16c, v116
	;; [unrolled: 1-line block ×4, first 2 shown]
	scratch_store_b64 off, v[0:1], off offset:24 ; 8-byte Folded Spill
	v_add_nc_u32_e32 v0, 0x208, v116
	scratch_store_b64 off, v[0:1], off offset:8 ; 8-byte Folded Spill
	v_add_nc_u32_e32 v0, 0x23c, v116
	scratch_store_b64 off, v[0:1], off offset:16 ; 8-byte Folded Spill
                                        ; implicit-def: $vgpr0
                                        ; implicit-def: $vgpr1_vgpr2
.LBB0_11:
	s_wait_alu 0xfffe
	s_or_saveexec_b32 s1, s0
	s_add_nc_u64 s[2:3], s[14:15], s[10:11]
	s_wait_alu 0xfffe
	s_xor_b32 exec_lo, exec_lo, s1
	s_cbranch_execz .LBB0_13
; %bb.12:
	s_add_nc_u64 s[10:11], s[12:13], s[10:11]
	v_lshlrev_b64_e32 v[1:2], 4, v[1:2]
	s_load_b64 s[10:11], s[10:11], 0x0
	s_wait_kmcnt 0x0
	v_mul_lo_u32 v6, s11, v120
	v_mul_lo_u32 v7, s10, v121
	v_mad_co_u64_u32 v[4:5], null, s10, v120, 0
	s_delay_alu instid0(VALU_DEP_1) | instskip(SKIP_1) | instid1(VALU_DEP_2)
	v_add3_u32 v5, v5, v7, v6
	v_mul_u32_u24_e32 v6, 52, v3
	v_lshlrev_b64_e32 v[3:4], 4, v[4:5]
	s_delay_alu instid0(VALU_DEP_2) | instskip(NEXT) | instid1(VALU_DEP_1)
	v_sub_nc_u32_e32 v116, v0, v6
	v_lshlrev_b32_e32 v96, 4, v116
	s_delay_alu instid0(VALU_DEP_3) | instskip(SKIP_1) | instid1(VALU_DEP_4)
	v_add_co_u32 v0, s0, s4, v3
	s_wait_alu 0xf1ff
	v_add_co_ci_u32_e64 v3, s0, s5, v4, s0
	v_add_nc_u32_e32 v97, 52, v116
	s_delay_alu instid0(VALU_DEP_3) | instskip(SKIP_1) | instid1(VALU_DEP_3)
	v_add_co_u32 v0, s0, v0, v1
	s_wait_alu 0xf1ff
	v_add_co_ci_u32_e64 v1, s0, v3, v2, s0
	v_add_nc_u32_e32 v113, 0x9c, v116
	s_delay_alu instid0(VALU_DEP_3) | instskip(SKIP_1) | instid1(VALU_DEP_3)
	v_add_co_u32 v92, s0, v0, v96
	s_wait_alu 0xf1ff
	v_add_co_ci_u32_e64 v93, s0, 0, v1, s0
	s_clause 0x17
	global_load_b128 v[0:3], v[92:93], off
	global_load_b128 v[4:7], v[92:93], off offset:832
	global_load_b128 v[8:11], v[92:93], off offset:1664
	;; [unrolled: 1-line block ×23, first 2 shown]
	scratch_store_b64 off, v[97:98], off    ; 8-byte Folded Spill
	v_add_nc_u32_e32 v97, 0x68, v116
	v_add_nc_u32_e32 v114, 0xd0, v116
	;; [unrolled: 1-line block ×5, first 2 shown]
	scratch_store_b64 off, v[97:98], off offset:24 ; 8-byte Folded Spill
	v_add_nc_u32_e32 v97, 0x208, v116
	v_add_nc_u32_e32 v96, 0, v96
	v_add_nc_u32_e32 v109, 0x1a0, v116
	v_add_nc_u32_e32 v110, 0x1d4, v116
	scratch_store_b64 off, v[97:98], off offset:8 ; 8-byte Folded Spill
	v_add_nc_u32_e32 v97, 0x23c, v116
	scratch_store_b64 off, v[97:98], off offset:16 ; 8-byte Folded Spill
	s_wait_loadcnt 0x17
	ds_store_b128 v96, v[0:3]
	s_wait_loadcnt 0x16
	ds_store_b128 v96, v[4:7] offset:832
	s_wait_loadcnt 0x15
	ds_store_b128 v96, v[8:11] offset:1664
	;; [unrolled: 2-line block ×23, first 2 shown]
.LBB0_13:
	s_or_b32 exec_lo, exec_lo, s1
	v_lshlrev_b32_e32 v101, 4, v116
	s_load_b64 s[2:3], s[2:3], 0x0
	global_wb scope:SCOPE_SE
	s_wait_storecnt_dscnt 0x0
	s_wait_kmcnt 0x0
	s_barrier_signal -1
	s_barrier_wait -1
	v_add_nc_u32_e32 v239, 0, v101
	global_inv scope:SCOPE_SE
	v_lshl_add_u32 v150, v109, 5, 0
	v_lshl_add_u32 v98, v113, 5, 0
	;; [unrolled: 1-line block ×3, first 2 shown]
	ds_load_b128 v[0:3], v239
	ds_load_b128 v[4:7], v239 offset:832
	ds_load_b128 v[8:11], v239 offset:9984
	ds_load_b128 v[12:15], v239 offset:10816
	ds_load_b128 v[16:19], v239 offset:1664
	ds_load_b128 v[20:23], v239 offset:2496
	ds_load_b128 v[24:27], v239 offset:11648
	ds_load_b128 v[28:31], v239 offset:12480
	ds_load_b128 v[32:35], v239 offset:3328
	ds_load_b128 v[36:39], v239 offset:4160
	ds_load_b128 v[40:43], v239 offset:13312
	ds_load_b128 v[44:47], v239 offset:14144
	ds_load_b128 v[48:51], v239 offset:4992
	ds_load_b128 v[52:55], v239 offset:5824
	ds_load_b128 v[56:59], v239 offset:14976
	ds_load_b128 v[60:63], v239 offset:15808
	ds_load_b128 v[64:67], v239 offset:6656
	ds_load_b128 v[68:71], v239 offset:7488
	ds_load_b128 v[72:75], v239 offset:16640
	ds_load_b128 v[76:79], v239 offset:17472
	ds_load_b128 v[80:83], v239 offset:8320
	ds_load_b128 v[84:87], v239 offset:9152
	ds_load_b128 v[88:91], v239 offset:18304
	ds_load_b128 v[92:95], v239 offset:19136
	s_clause 0x1
	scratch_load_b64 v[96:97], off, off
	scratch_load_b64 v[111:112], off, off offset:24
	s_wait_dscnt 0x15
	v_add_f64_e64 v[8:9], v[0:1], -v[8:9]
	v_add_f64_e64 v[10:11], v[2:3], -v[10:11]
	s_wait_dscnt 0x14
	v_add_f64_e64 v[12:13], v[4:5], -v[12:13]
	v_add_f64_e64 v[14:15], v[6:7], -v[14:15]
	;; [unrolled: 3-line block ×6, first 2 shown]
	s_wait_dscnt 0x9
	v_add_f64_e64 v[56:57], v[48:49], -v[56:57]
	s_wait_dscnt 0x5
	v_add_f64_e64 v[72:73], v[64:65], -v[72:73]
	v_add_f64_e64 v[74:75], v[66:67], -v[74:75]
	;; [unrolled: 1-line block ×5, first 2 shown]
	v_lshl_add_u32 v100, v125, 5, 0
	s_wait_loadcnt 0x0
	v_lshl_add_u32 v112, v107, 5, 0
	v_lshl_add_u32 v126, v124, 5, 0
	s_wait_dscnt 0x4
	v_add_f64_e64 v[76:77], v[68:69], -v[76:77]
	v_add_f64_e64 v[78:79], v[70:71], -v[78:79]
	s_wait_dscnt 0x1
	v_add_f64_e64 v[88:89], v[80:81], -v[88:89]
	v_add_f64_e64 v[90:91], v[82:83], -v[90:91]
	;; [unrolled: 3-line block ×3, first 2 shown]
	v_lshl_add_u32 v151, v110, 5, 0
	v_lshlrev_b32_e32 v149, 1, v116
	v_lshlrev_b32_e32 v117, 4, v107
	;; [unrolled: 1-line block ×3, first 2 shown]
	v_lshl_add_u32 v148, v113, 4, 0
	v_lshl_add_u32 v147, v114, 4, 0
	v_lshlrev_b32_e32 v155, 4, v109
	v_lshlrev_b32_e32 v122, 1, v113
	;; [unrolled: 1-line block ×5, first 2 shown]
	v_fma_f64 v[0:1], v[0:1], 2.0, -v[8:9]
	v_fma_f64 v[2:3], v[2:3], 2.0, -v[10:11]
	;; [unrolled: 1-line block ×18, first 2 shown]
	v_lshlrev_b32_e32 v141, 1, v110
	v_lshlrev_b32_e32 v139, 1, v124
	v_cmp_gt_u32_e64 s0, 44, v116
	v_fma_f64 v[68:69], v[68:69], 2.0, -v[76:77]
	v_fma_f64 v[70:71], v[70:71], 2.0, -v[78:79]
	;; [unrolled: 1-line block ×6, first 2 shown]
	v_mov_b32_e32 v108, v96
	scratch_store_b32 off, v101, off offset:32 ; 4-byte Folded Spill
	v_add_nc_u32_e32 v101, v239, v101
	v_lshl_add_u32 v97, v111, 5, 0
	global_wb scope:SCOPE_SE
	s_wait_storecnt 0x0
	v_lshl_add_u32 v96, v108, 5, 0
	s_barrier_signal -1
	s_barrier_wait -1
	global_inv scope:SCOPE_SE
	ds_store_b128 v101, v[0:3]
	ds_store_b128 v101, v[8:11] offset:16
	ds_store_b128 v96, v[4:7]
	ds_store_b128 v96, v[12:15] offset:16
	;; [unrolled: 2-line block ×9, first 2 shown]
	s_clause 0x1
	scratch_load_b64 v[144:145], off, off offset:8
	scratch_load_b64 v[145:146], off, off offset:16
	v_and_b32_e32 v12, 1, v116
	ds_store_b128 v151, v[68:71]
	ds_store_b128 v151, v[76:79] offset:16
	v_lshl_add_u32 v57, v108, 4, 0
	v_lshlrev_b32_e32 v154, 1, v108
	v_mov_b32_e32 v108, v113
	v_lshlrev_b32_e32 v0, 4, v12
	v_lshl_add_u32 v135, v111, 4, 0
	v_lshlrev_b32_e32 v127, 4, v124
	s_wait_loadcnt 0x0
	v_lshl_add_u32 v146, v125, 4, 0
	v_lshlrev_b32_e32 v115, 1, v111
	s_delay_alu instid0(VALU_DEP_3)
	v_sub_nc_u32_e32 v143, v126, v127
	v_lshl_add_u32 v152, v144, 5, 0
	v_lshl_add_u32 v153, v145, 5, 0
	ds_store_b128 v152, v[80:83]
	ds_store_b128 v152, v[88:91] offset:16
	ds_store_b128 v153, v[84:87]
	ds_store_b128 v153, v[92:95] offset:16
	global_wb scope:SCOPE_SE
	s_wait_dscnt 0x0
	s_barrier_signal -1
	s_barrier_wait -1
	global_inv scope:SCOPE_SE
	global_load_b128 v[0:3], v0, s[8:9]
	ds_load_b128 v[4:7], v239 offset:9984
	ds_load_b128 v[8:11], v239 offset:10816
	;; [unrolled: 1-line block ×11, first 2 shown]
	ds_load_b128 v[49:52], v239
	ds_load_b128 v[53:56], v239 offset:19136
	scratch_store_b64 off, v[108:109], off offset:80 ; 8-byte Folded Spill
	v_dual_mov_b32 v108, v114 :: v_dual_lshlrev_b32 v157, 4, v144
	v_lshlrev_b32_e32 v158, 4, v145
	scratch_store_b64 off, v[108:109], off offset:88 ; 8-byte Folded Spill
	v_mov_b32_e32 v108, v125
	v_lshlrev_b32_e32 v156, 4, v110
	scratch_store_b64 off, v[108:109], off offset:96 ; 8-byte Folded Spill
	v_dual_mov_b32 v108, v107 :: v_dual_mov_b32 v107, v109
	v_sub_nc_u32_e32 v142, v112, v117
	s_clause 0x2
	scratch_store_b64 off, v[108:109], off offset:36
	scratch_store_b64 off, v[107:108], off offset:44
	scratch_store_b32 off, v57, off offset:76
	v_mov_b32_e32 v107, v110
	ds_load_b128 v[57:60], v57
	s_clause 0x4
	scratch_store_b64 off, v[107:108], off offset:52
	scratch_store_b32 off, v112, off offset:112
	scratch_store_b32 off, v117, off offset:140
	scratch_store_b32 off, v135, off offset:72
	scratch_store_b32 off, v148, off offset:68
	s_wait_loadcnt_dscnt 0xd
	v_mul_f64_e32 v[61:62], v[6:7], v[2:3]
	v_mul_f64_e32 v[63:64], v[4:5], v[2:3]
	s_wait_dscnt 0xc
	v_mul_f64_e32 v[65:66], v[10:11], v[2:3]
	v_mul_f64_e32 v[67:68], v[8:9], v[2:3]
	s_wait_dscnt 0xb
	;; [unrolled: 3-line block ×11, first 2 shown]
	v_mul_f64_e32 v[105:106], v[55:56], v[2:3]
	v_mul_f64_e32 v[2:3], v[53:54], v[2:3]
	v_fma_f64 v[4:5], v[4:5], v[0:1], v[61:62]
	v_fma_f64 v[6:7], v[6:7], v[0:1], -v[63:64]
	v_fma_f64 v[8:9], v[8:9], v[0:1], v[65:66]
	v_fma_f64 v[10:11], v[10:11], v[0:1], -v[67:68]
	;; [unrolled: 2-line block ×11, first 2 shown]
	v_fma_f64 v[105:106], v[53:54], v[0:1], v[105:106]
	ds_load_b128 v[13:16], v135
	ds_load_b128 v[32:35], v148
	v_fma_f64 v[135:136], v[55:56], v[0:1], -v[2:3]
	v_sub_nc_u32_e32 v0, v150, v155
	s_clause 0x2
	scratch_store_b32 off, v150, off offset:116
	scratch_store_b32 off, v155, off offset:144
	;; [unrolled: 1-line block ×3, first 2 shown]
	ds_load_b128 v[36:39], v147
	v_sub_nc_u32_e32 v2, v152, v157
	v_sub_nc_u32_e32 v3, v153, v158
	v_lshlrev_b32_e32 v48, 1, v144
	v_add_f64_e64 v[77:78], v[49:50], -v[4:5]
	v_mov_b32_e32 v5, v149
	v_sub_nc_u32_e32 v1, v151, v156
	s_clause 0x2
	scratch_store_b32 off, v151, off offset:120
	scratch_store_b32 off, v156, off offset:148
	;; [unrolled: 1-line block ×3, first 2 shown]
	ds_load_b128 v[40:43], v146
	s_clause 0x1
	scratch_store_b32 off, v152, off offset:124
	scratch_store_b32 off, v157, off offset:152
	ds_load_b128 v[44:47], v142
	s_clause 0x1
	scratch_store_b32 off, v153, off offset:128
	scratch_store_b32 off, v158, off offset:156
	ds_load_b128 v[53:56], v143
	ds_load_b128 v[61:64], v0
	ds_load_b128 v[65:68], v1
	ds_load_b128 v[69:72], v2
	ds_load_b128 v[73:76], v3
	v_add_f64_e64 v[79:80], v[51:52], -v[6:7]
	s_wait_dscnt 0x8
	v_add_f64_e64 v[89:90], v[32:33], -v[17:18]
	v_add_f64_e64 v[91:92], v[34:35], -v[19:20]
	s_wait_dscnt 0x7
	v_add_f64_e64 v[93:94], v[36:37], -v[21:22]
	v_add_f64_e64 v[95:96], v[38:39], -v[23:24]
	;; [unrolled: 1-line block ×6, first 2 shown]
	v_lshlrev_b32_e32 v4, 1, v145
	scratch_store_b64 off, v[5:6], off offset:104 ; 8-byte Folded Spill
	v_mov_b32_e32 v6, v154
	v_and_or_b32 v5, 0x7c, v149, v12
	v_and_or_b32 v17, 0x3fc, v139, v12
	s_wait_dscnt 0x6
	v_add_f64_e64 v[97:98], v[40:41], -v[25:26]
	v_add_f64_e64 v[99:100], v[42:43], -v[27:28]
	s_wait_dscnt 0x5
	v_add_f64_e64 v[0:1], v[44:45], -v[29:30]
	s_wait_dscnt 0x2
	v_add_f64_e64 v[20:21], v[65:66], -v[131:132]
	v_add_f64_e64 v[150:151], v[53:54], -v[113:114]
	;; [unrolled: 1-line block ×6, first 2 shown]
	s_wait_dscnt 0x1
	v_add_f64_e64 v[28:29], v[69:70], -v[101:102]
	v_add_f64_e64 v[30:31], v[71:72], -v[103:104]
	s_wait_dscnt 0x0
	v_add_f64_e64 v[24:25], v[73:74], -v[105:106]
	v_add_f64_e64 v[26:27], v[75:76], -v[135:136]
	;; [unrolled: 1-line block ×3, first 2 shown]
	v_and_or_b32 v113, 0x4fc, v48, v12
	v_fma_f64 v[48:49], v[49:50], 2.0, -v[77:78]
	v_and_or_b32 v18, 0x3fc, v140, v12
	v_and_or_b32 v19, 0x7fc, v141, v12
	;; [unrolled: 1-line block ×3, first 2 shown]
	scratch_store_b64 off, v[6:7], off offset:132 ; 8-byte Folded Spill
	v_and_or_b32 v6, 0xfc, v154, v12
	v_and_or_b32 v7, 0x1fc, v115, v12
	;; [unrolled: 1-line block ×4, first 2 shown]
	v_fma_f64 v[50:51], v[51:52], 2.0, -v[79:80]
	v_fma_f64 v[105:106], v[32:33], 2.0, -v[89:90]
	;; [unrolled: 1-line block ×9, first 2 shown]
	v_and_or_b32 v10, 0x2fc, v137, v12
	v_and_or_b32 v11, 0x2fc, v138, v12
	v_lshl_add_u32 v5, v5, 4, 0
	v_lshl_add_u32 v12, v17, 4, 0
	v_lshl_add_u32 v13, v18, 4, 0
	v_fma_f64 v[145:146], v[40:41], 2.0, -v[97:98]
	v_fma_f64 v[147:148], v[42:43], 2.0, -v[99:100]
	;; [unrolled: 1-line block ×14, first 2 shown]
	v_lshl_add_u32 v14, v19, 4, 0
	v_lshl_add_u32 v15, v113, 4, 0
	;; [unrolled: 1-line block ×9, first 2 shown]
	global_wb scope:SCOPE_SE
	s_wait_storecnt 0x0
	s_barrier_signal -1
	s_barrier_wait -1
	global_inv scope:SCOPE_SE
	ds_store_b128 v5, v[48:51]
	ds_store_b128 v5, v[77:80] offset:32
	ds_store_b128 v6, v[57:60]
	ds_store_b128 v6, v[81:84] offset:32
	;; [unrolled: 2-line block ×7, first 2 shown]
	s_clause 0x1
	scratch_store_b128 off, v[150:153], off offset:160
	scratch_store_b128 off, v[125:128], off offset:176
	ds_store_b128 v12, v[150:153] offset:32
	scratch_store_b128 off, v[32:35], off offset:192 ; 16-byte Folded Spill
	ds_store_b128 v12, v[32:35]
	scratch_store_b128 off, v[36:39], off offset:208 ; 16-byte Folded Spill
	ds_store_b128 v13, v[36:39]
	ds_store_b128 v13, v[125:128] offset:32
	scratch_store_b128 off, v[40:43], off offset:224 ; 16-byte Folded Spill
	ds_store_b128 v14, v[40:43]
	ds_store_b128 v14, v[20:23] offset:32
	;; [unrolled: 3-line block ×4, first 2 shown]
	global_wb scope:SCOPE_SE
	s_wait_storecnt_dscnt 0x0
	s_barrier_signal -1
	s_barrier_wait -1
	global_inv scope:SCOPE_SE
	ds_load_b128 v[100:103], v239
	ds_load_b128 v[56:59], v239 offset:1536
	ds_load_b128 v[68:71], v239 offset:3072
	;; [unrolled: 1-line block ×12, first 2 shown]
                                        ; implicit-def: $vgpr4_vgpr5
	s_clause 0x1
	scratch_store_b128 off, v[2:5], off offset:288
	; meta instruction
	scratch_store_b128 off, v[2:5], off offset:272
	s_and_saveexec_b32 s1, s0
	s_cbranch_execz .LBB0_15
; %bb.14:
	scratch_load_b64 v[0:1], off, off       ; 8-byte Folded Reload
	s_wait_loadcnt 0x0
	v_lshl_add_u32 v0, v0, 4, 0
	ds_load_b128 v[0:3], v0
	ds_load_b128 v[4:7], v239 offset:2368
	s_wait_dscnt 0x0
	scratch_store_b128 off, v[4:7], off offset:192 ; 16-byte Folded Spill
	ds_load_b128 v[4:7], v239 offset:3904
	s_wait_dscnt 0x0
	scratch_store_b128 off, v[4:7], off offset:160 ; 16-byte Folded Spill
	;; [unrolled: 3-line block ×5, first 2 shown]
	ds_load_b128 v[20:23], v239 offset:10048
	ds_load_b128 v[4:7], v239 offset:11584
	s_wait_dscnt 0x0
	scratch_store_b128 off, v[4:7], off offset:256 ; 16-byte Folded Spill
	ds_load_b128 v[28:31], v239 offset:13120
	ds_load_b128 v[4:7], v239 offset:14656
	s_wait_dscnt 0x0
	scratch_store_b128 off, v[4:7], off offset:240 ; 16-byte Folded Spill
	;; [unrolled: 4-line block ×3, first 2 shown]
	ds_load_b128 v[4:7], v239 offset:19264
	s_wait_dscnt 0x0
	scratch_store_b128 off, v[4:7], off offset:288 ; 16-byte Folded Spill
.LBB0_15:
	s_wait_alu 0xfffe
	s_or_b32 exec_lo, exec_lo, s1
	v_and_b32_e32 v117, 3, v116
	s_mov_b32 s44, 0x4267c47c
	s_mov_b32 s26, 0x42a4c3d2
	;; [unrolled: 1-line block ×4, first 2 shown]
	v_mul_u32_u24_e32 v4, 12, v117
	s_mov_b32 s20, 0x24c2f84
	s_mov_b32 s18, 0x4bc48dbf
	;; [unrolled: 1-line block ×4, first 2 shown]
	v_lshlrev_b32_e32 v4, 4, v4
	s_mov_b32 s25, 0xbfefc445
	s_mov_b32 s23, 0xbfedeba7
	s_mov_b32 s21, 0xbfe5384d
	s_mov_b32 s19, 0xbfcea1e5
	s_clause 0x1
	global_load_b128 v[52:55], v4, s[8:9] offset:32
	global_load_b128 v[60:63], v4, s[8:9] offset:48
	s_mov_b32 s4, 0x93053d00
	s_mov_b32 s5, 0xbfef11f4
	;; [unrolled: 1-line block ×16, first 2 shown]
	s_wait_alu 0xfffe
	s_mov_b32 s40, s26
	s_mov_b32 s36, s24
	;; [unrolled: 1-line block ×8, first 2 shown]
	s_wait_loadcnt_dscnt 0x10b
	v_mul_f64_e32 v[64:65], v[56:57], v[54:55]
	s_delay_alu instid0(VALU_DEP_1) | instskip(SKIP_1) | instid1(VALU_DEP_1)
	v_fma_f64 v[125:126], v[58:59], v[52:53], -v[64:65]
	v_mul_f64_e32 v[58:59], v[58:59], v[54:55]
	v_fma_f64 v[127:128], v[56:57], v[52:53], v[58:59]
	s_clause 0x1
	global_load_b128 v[56:59], v4, s[8:9] offset:208
	global_load_b128 v[64:67], v4, s[8:9] offset:192
	s_wait_loadcnt_dscnt 0x100
	v_mul_f64_e32 v[129:130], v[72:73], v[58:59]
	s_delay_alu instid0(VALU_DEP_1) | instskip(SKIP_1) | instid1(VALU_DEP_1)
	v_fma_f64 v[5:6], v[74:75], v[56:57], -v[129:130]
	v_mul_f64_e32 v[74:75], v[74:75], v[58:59]
	v_fma_f64 v[7:8], v[72:73], v[56:57], v[74:75]
	v_mul_f64_e32 v[72:73], v[70:71], v[62:63]
	s_delay_alu instid0(VALU_DEP_2) | instskip(NEXT) | instid1(VALU_DEP_2)
	v_add_f64_e32 v[181:182], v[127:128], v[7:8]
	v_fma_f64 v[9:10], v[68:69], v[60:61], v[72:73]
	v_mul_f64_e32 v[68:69], v[68:69], v[62:63]
	v_add_f64_e64 v[201:202], v[127:128], -v[7:8]
	s_delay_alu instid0(VALU_DEP_2)
	v_fma_f64 v[11:12], v[70:71], v[60:61], -v[68:69]
	s_clause 0x1
	global_load_b128 v[68:71], v4, s[8:9] offset:64
	global_load_b128 v[72:75], v4, s[8:9] offset:80
	s_wait_loadcnt 0x1
	v_mul_f64_e32 v[129:130], v[94:95], v[70:71]
	s_delay_alu instid0(VALU_DEP_1) | instskip(SKIP_1) | instid1(VALU_DEP_1)
	v_fma_f64 v[13:14], v[92:93], v[68:69], v[129:130]
	v_mul_f64_e32 v[92:93], v[92:93], v[70:71]
	v_fma_f64 v[15:16], v[94:95], v[68:69], -v[92:93]
	s_wait_loadcnt 0x0
	v_mul_f64_e32 v[92:93], v[86:87], v[74:75]
	s_delay_alu instid0(VALU_DEP_1) | instskip(SKIP_1) | instid1(VALU_DEP_1)
	v_fma_f64 v[17:18], v[84:85], v[72:73], v[92:93]
	v_mul_f64_e32 v[84:85], v[84:85], v[74:75]
	v_fma_f64 v[32:33], v[86:87], v[72:73], -v[84:85]
	s_clause 0x1
	global_load_b128 v[84:87], v4, s[8:9] offset:96
	global_load_b128 v[92:95], v4, s[8:9] offset:112
	s_wait_loadcnt 0x1
	v_mul_f64_e32 v[129:130], v[98:99], v[86:87]
	s_delay_alu instid0(VALU_DEP_1) | instskip(SKIP_1) | instid1(VALU_DEP_1)
	v_fma_f64 v[34:35], v[96:97], v[84:85], v[129:130]
	v_mul_f64_e32 v[96:97], v[96:97], v[86:87]
	v_fma_f64 v[36:37], v[98:99], v[84:85], -v[96:97]
	s_wait_loadcnt 0x0
	v_mul_f64_e32 v[96:97], v[90:91], v[94:95]
	s_delay_alu instid0(VALU_DEP_1) | instskip(SKIP_1) | instid1(VALU_DEP_1)
	v_fma_f64 v[38:39], v[88:89], v[92:93], v[96:97]
	v_mul_f64_e32 v[88:89], v[88:89], v[94:95]
	v_fma_f64 v[40:41], v[90:91], v[92:93], -v[88:89]
	s_clause 0x1
	global_load_b128 v[96:99], v4, s[8:9] offset:128
	global_load_b128 v[88:91], v4, s[8:9] offset:144
	s_wait_loadcnt 0x1
	v_mul_f64_e32 v[129:130], v[82:83], v[98:99]
	s_delay_alu instid0(VALU_DEP_1) | instskip(SKIP_1) | instid1(VALU_DEP_1)
	v_fma_f64 v[42:43], v[80:81], v[96:97], v[129:130]
	v_mul_f64_e32 v[80:81], v[80:81], v[98:99]
	v_fma_f64 v[141:142], v[82:83], v[96:97], -v[80:81]
	s_wait_loadcnt 0x0
	v_mul_f64_e32 v[80:81], v[78:79], v[90:91]
	s_delay_alu instid0(VALU_DEP_1) | instskip(SKIP_1) | instid1(VALU_DEP_2)
	v_fma_f64 v[143:144], v[76:77], v[88:89], v[80:81]
	v_mul_f64_e32 v[76:77], v[76:77], v[90:91]
	v_add_f64_e64 v[233:234], v[34:35], -v[143:144]
	s_delay_alu instid0(VALU_DEP_2)
	v_fma_f64 v[149:150], v[78:79], v[88:89], -v[76:77]
	s_clause 0x1
	global_load_b128 v[80:83], v4, s[8:9] offset:160
	global_load_b128 v[76:79], v4, s[8:9] offset:176
	v_mov_b32_e32 v4, v5
	v_mov_b32_e32 v5, v6
	s_clause 0x6
	scratch_store_b64 off, v[11:12], off offset:352
	scratch_store_b64 off, v[9:10], off offset:360
	;; [unrolled: 1-line block ×7, first 2 shown]
	v_add_f64_e64 v[237:238], v[36:37], -v[149:150]
	s_delay_alu instid0(VALU_DEP_1) | instskip(SKIP_3) | instid1(VALU_DEP_1)
	v_mul_f64_e32 v[161:162], s[36:37], v[237:238]
	v_mul_f64_e32 v[167:168], s[30:31], v[237:238]
	s_wait_loadcnt 0x1
	v_mul_f64_e32 v[129:130], v[114:115], v[82:83]
	v_fma_f64 v[147:148], v[112:113], v[80:81], v[129:130]
	v_mul_f64_e32 v[112:113], v[112:113], v[82:83]
	s_delay_alu instid0(VALU_DEP_1) | instskip(SKIP_2) | instid1(VALU_DEP_2)
	v_fma_f64 v[145:146], v[114:115], v[80:81], -v[112:113]
	s_wait_loadcnt 0x0
	v_mul_f64_e32 v[114:115], v[110:111], v[78:79]
	v_add_f64_e64 v[139:140], v[32:33], -v[145:146]
	s_delay_alu instid0(VALU_DEP_2) | instskip(SKIP_2) | instid1(VALU_DEP_4)
	v_fma_f64 v[137:138], v[108:109], v[76:77], v[114:115]
	v_mul_f64_e32 v[108:109], v[108:109], v[78:79]
	v_add_f64_e32 v[231:232], v[32:33], v[145:146]
	v_mul_f64_e32 v[157:158], s[38:39], v[139:140]
	v_mul_f64_e32 v[177:178], s[24:25], v[139:140]
	s_delay_alu instid0(VALU_DEP_4) | instskip(SKIP_3) | instid1(VALU_DEP_4)
	v_fma_f64 v[114:115], v[110:111], v[76:77], -v[108:109]
	v_mul_f64_e32 v[110:111], v[106:107], v[66:67]
	v_mul_f64_e32 v[108:109], s[20:21], v[237:238]
	;; [unrolled: 1-line block ×3, first 2 shown]
	v_add_f64_e64 v[44:45], v[15:16], -v[114:115]
	s_delay_alu instid0(VALU_DEP_4) | instskip(SKIP_2) | instid1(VALU_DEP_4)
	v_fma_f64 v[112:113], v[104:105], v[64:65], v[110:111]
	v_mul_f64_e32 v[104:105], v[104:105], v[66:67]
	v_add_f64_e32 v[48:49], v[15:16], v[114:115]
	v_mul_f64_e32 v[252:253], s[18:19], v[44:45]
	v_mul_f64_e32 v[173:174], s[30:31], v[44:45]
	s_delay_alu instid0(VALU_DEP_4) | instskip(SKIP_3) | instid1(VALU_DEP_4)
	v_fma_f64 v[110:111], v[106:107], v[64:65], -v[104:105]
	v_add_f64_e64 v[106:107], v[125:126], -v[4:5]
	v_mul_f64_e32 v[254:255], s[4:5], v[48:49]
	v_mul_f64_e32 v[175:176], s[28:29], v[48:49]
	v_add_f64_e64 v[244:245], v[11:12], -v[110:111]
	s_delay_alu instid0(VALU_DEP_4)
	v_mul_f64_e32 v[129:130], s[44:45], v[106:107]
	v_mul_f64_e32 v[131:132], s[26:27], v[106:107]
	;; [unrolled: 1-line block ×6, first 2 shown]
	v_add_f64_e32 v[235:236], v[11:12], v[110:111]
	v_mul_f64_e32 v[171:172], s[38:39], v[244:245]
	v_fma_f64 v[183:184], v[181:182], s[28:29], v[129:130]
	v_fma_f64 v[129:130], v[181:182], s[28:29], -v[129:130]
	v_fma_f64 v[185:186], v[181:182], s[16:17], v[131:132]
	v_fma_f64 v[131:132], v[181:182], s[16:17], -v[131:132]
	v_fma_f64 v[193:194], v[181:182], s[10:11], v[179:180]
	v_fma_f64 v[205:206], v[181:182], s[4:5], v[106:107]
	v_fma_f64 v[207:208], v[181:182], s[4:5], -v[106:107]
	v_add_f64_e32 v[106:107], v[125:126], v[4:5]
	v_add_f64_e32 v[4:5], v[100:101], v[127:128]
	scratch_store_b64 off, v[7:8], off offset:312 ; 8-byte Folded Spill
	v_fma_f64 v[195:196], v[181:182], s[10:11], -v[179:180]
	v_fma_f64 v[187:188], v[181:182], s[14:15], v[133:134]
	v_fma_f64 v[133:134], v[181:182], s[14:15], -v[133:134]
	v_fma_f64 v[191:192], v[181:182], s[12:13], v[135:136]
	v_fma_f64 v[135:136], v[181:182], s[12:13], -v[135:136]
	v_add_f64_e32 v[131:132], v[100:101], v[131:132]
	v_add_f64_e32 v[227:228], v[100:101], v[205:206]
	;; [unrolled: 1-line block ×3, first 2 shown]
	v_mul_f64_e32 v[179:180], s[28:29], v[106:107]
	scratch_store_b64 off, v[4:5], off offset:320 ; 8-byte Folded Spill
	v_add_f64_e32 v[4:5], v[102:103], v[125:126]
	v_mul_f64_e32 v[181:182], s[16:17], v[106:107]
	v_mul_f64_e32 v[189:190], s[14:15], v[106:107]
	;; [unrolled: 1-line block ×5, first 2 shown]
	v_add_f64_e32 v[125:126], v[100:101], v[183:184]
	v_fma_f64 v[209:210], v[201:202], s[44:45], v[179:180]
	v_fma_f64 v[203:204], v[201:202], s[30:31], v[179:180]
	scratch_store_b64 off, v[4:5], off offset:328 ; 8-byte Folded Spill
	v_add_f64_e32 v[4:5], v[100:101], v[129:130]
	v_fma_f64 v[211:212], v[201:202], s[40:41], v[181:182]
	v_fma_f64 v[213:214], v[201:202], s[26:27], v[181:182]
	;; [unrolled: 1-line block ×3, first 2 shown]
	v_add_f64_e32 v[181:182], v[100:101], v[133:134]
	v_add_f64_e32 v[133:134], v[100:101], v[191:192]
	v_mul_f64_e32 v[191:192], s[26:27], v[244:245]
	v_fma_f64 v[217:218], v[201:202], s[24:25], v[189:190]
	s_wait_alu 0xfffe
	v_fma_f64 v[219:220], v[201:202], s[34:35], v[197:198]
	v_fma_f64 v[197:198], v[201:202], s[22:23], v[197:198]
	;; [unrolled: 1-line block ×6, first 2 shown]
	v_add_f64_e32 v[129:130], v[100:101], v[185:186]
	v_add_f64_e32 v[199:200], v[100:101], v[135:136]
	;; [unrolled: 1-line block ×3, first 2 shown]
	v_add_f64_e64 v[193:194], v[9:10], -v[112:113]
	v_dual_mov_b32 v190, v41 :: v_dual_mov_b32 v189, v40
	v_dual_mov_b32 v186, v39 :: v_dual_mov_b32 v185, v38
	v_mul_f64_e32 v[40:41], s[16:17], v[48:49]
	s_delay_alu instid0(VALU_DEP_3) | instskip(NEXT) | instid1(VALU_DEP_3)
	v_add_f64_e32 v[153:154], v[189:190], v[141:142]
	v_add_f64_e32 v[151:152], v[185:186], v[42:43]
	v_add_f64_e64 v[155:156], v[185:186], -v[42:43]
	v_add_f64_e32 v[127:128], v[102:103], v[203:204]
	v_add_f64_e32 v[203:204], v[100:101], v[195:196]
	scratch_store_b64 off, v[4:5], off offset:336 ; 8-byte Folded Spill
	v_add_f64_e32 v[4:5], v[102:103], v[209:210]
	v_mul_f64_e32 v[195:196], s[16:17], v[235:236]
	v_add_f64_e32 v[246:247], v[102:103], v[215:216]
	v_add_f64_e32 v[215:216], v[100:101], v[207:208]
	v_mul_f64_e32 v[207:208], s[24:25], v[44:45]
	v_add_f64_e32 v[240:241], v[102:103], v[211:212]
	v_add_f64_e32 v[242:243], v[102:103], v[213:214]
	;; [unrolled: 1-line block ×9, first 2 shown]
	v_add_f64_e64 v[209:210], v[13:14], -v[137:138]
	v_mul_f64_e32 v[211:212], s[14:15], v[48:49]
	v_add_f64_e32 v[217:218], v[17:18], v[147:148]
	v_mul_f64_e32 v[219:220], s[22:23], v[139:140]
	v_add_f64_e64 v[221:222], v[17:18], -v[147:148]
	v_mul_f64_e32 v[223:224], s[12:13], v[231:232]
	v_add_f64_e32 v[12:13], v[36:37], v[149:150]
	v_add_f64_e32 v[229:230], v[34:35], v[143:144]
	v_mul_f64_e32 v[16:17], s[14:15], v[231:232]
	v_mul_f64_e32 v[6:7], s[10:11], v[153:154]
	scratch_store_b64 off, v[4:5], off offset:344 ; 8-byte Folded Spill
	v_add_f64_e32 v[4:5], v[100:101], v[187:188]
	v_add_f64_e32 v[187:188], v[9:10], v[112:113]
	v_fma_f64 v[102:103], v[193:194], s[40:41], v[195:196]
	v_fma_f64 v[46:47], v[205:206], s[14:15], v[207:208]
	s_clause 0x1
	scratch_store_b64 off, v[36:37], off offset:416
	scratch_store_b64 off, v[149:150], off offset:400
	v_add_f64_e64 v[149:150], v[189:190], -v[141:142]
	s_clause 0x1
	scratch_store_b64 off, v[34:35], off offset:424
	scratch_store_b64 off, v[143:144], off offset:408
	v_mul_f64_e32 v[36:37], s[16:17], v[153:154]
	s_clause 0x1
	scratch_store_b64 off, v[141:142], off offset:432
	scratch_store_b64 off, v[42:43], off offset:440
	v_mul_f64_e32 v[141:142], s[4:5], v[231:232]
	v_fma_f64 v[42:43], v[209:210], s[40:41], v[40:41]
	v_fma_f64 v[50:51], v[209:210], s[36:37], v[211:212]
	v_mul_f64_e32 v[106:107], s[10:11], v[12:13]
	v_mul_f64_e32 v[163:164], s[14:15], v[12:13]
	;; [unrolled: 1-line block ×3, first 2 shown]
	v_fma_f64 v[18:19], v[221:222], s[36:37], v[16:17]
	v_mul_f64_e32 v[32:33], s[4:5], v[12:13]
	v_mul_f64_e32 v[169:170], s[28:29], v[12:13]
	;; [unrolled: 1-line block ×3, first 2 shown]
	v_fma_f64 v[100:101], v[187:188], s[16:17], v[191:192]
	v_add_f64_e32 v[102:103], v[102:103], v[127:128]
	v_mul_f64_e32 v[104:105], s[18:19], v[149:150]
	v_mul_f64_e32 v[165:166], s[30:31], v[149:150]
	;; [unrolled: 1-line block ×3, first 2 shown]
	v_fma_f64 v[38:39], v[155:156], s[26:27], v[36:37]
	v_mul_f64_e32 v[8:9], s[22:23], v[149:150]
	v_fma_f64 v[34:35], v[233:234], s[18:19], v[32:33]
	v_add_f64_e32 v[100:101], v[100:101], v[125:126]
	v_add_f64_e32 v[50:51], v[50:51], v[102:103]
	v_fma_f64 v[102:103], v[229:230], s[10:11], v[108:109]
	v_fma_f64 v[125:126], v[233:234], s[38:39], v[106:107]
	;; [unrolled: 1-line block ×3, first 2 shown]
	v_fma_f64 v[8:9], v[151:152], s[12:13], -v[8:9]
	v_add_f64_e32 v[46:47], v[46:47], v[100:101]
	v_fma_f64 v[100:101], v[217:218], s[12:13], v[219:220]
	s_delay_alu instid0(VALU_DEP_1) | instskip(SKIP_1) | instid1(VALU_DEP_2)
	v_add_f64_e32 v[46:47], v[100:101], v[46:47]
	v_fma_f64 v[100:101], v[221:222], s[34:35], v[223:224]
	v_add_f64_e32 v[102:103], v[102:103], v[46:47]
	s_delay_alu instid0(VALU_DEP_2) | instskip(SKIP_2) | instid1(VALU_DEP_3)
	v_add_f64_e32 v[100:101], v[100:101], v[50:51]
	v_mul_f64_e32 v[50:51], s[4:5], v[153:154]
	v_mul_f64_e32 v[46:47], s[4:5], v[235:236]
	v_add_f64_e32 v[125:126], v[125:126], v[100:101]
	v_fma_f64 v[100:101], v[151:152], s[4:5], v[104:105]
	s_delay_alu instid0(VALU_DEP_1) | instskip(SKIP_1) | instid1(VALU_DEP_1)
	v_add_f64_e32 v[100:101], v[100:101], v[102:103]
	v_fma_f64 v[102:103], v[155:156], s[42:43], v[50:51]
	v_add_f64_e32 v[102:103], v[102:103], v[125:126]
	v_mul_f64_e32 v[125:126], s[22:23], v[244:245]
	s_delay_alu instid0(VALU_DEP_1) | instskip(SKIP_1) | instid1(VALU_DEP_2)
	v_fma_f64 v[127:128], v[187:188], s[12:13], v[125:126]
	v_fma_f64 v[125:126], v[187:188], s[12:13], -v[125:126]
	v_add_f64_e32 v[127:128], v[127:128], v[129:130]
	v_mul_f64_e32 v[129:130], s[12:13], v[235:236]
	s_delay_alu instid0(VALU_DEP_3) | instskip(SKIP_1) | instid1(VALU_DEP_3)
	v_add_f64_e32 v[125:126], v[125:126], v[131:132]
	v_fma_f64 v[131:132], v[205:206], s[4:5], -v[252:253]
	v_fma_f64 v[248:249], v[193:194], s[34:35], v[129:130]
	v_fma_f64 v[129:130], v[193:194], s[22:23], v[129:130]
	s_delay_alu instid0(VALU_DEP_3) | instskip(SKIP_1) | instid1(VALU_DEP_4)
	v_add_f64_e32 v[125:126], v[131:132], v[125:126]
	v_fma_f64 v[131:132], v[209:210], s[18:19], v[254:255]
	v_add_f64_e32 v[240:241], v[248:249], v[240:241]
	v_fma_f64 v[248:249], v[205:206], s[4:5], v[252:253]
	v_add_f64_e32 v[129:130], v[129:130], v[242:243]
	s_delay_alu instid0(VALU_DEP_2) | instskip(SKIP_1) | instid1(VALU_DEP_3)
	v_add_f64_e32 v[127:128], v[248:249], v[127:128]
	v_fma_f64 v[248:249], v[209:210], s[42:43], v[254:255]
	v_add_f64_e32 v[129:130], v[131:132], v[129:130]
	v_fma_f64 v[131:132], v[217:218], s[10:11], -v[157:158]
	s_delay_alu instid0(VALU_DEP_3) | instskip(SKIP_1) | instid1(VALU_DEP_3)
	v_add_f64_e32 v[240:241], v[248:249], v[240:241]
	v_fma_f64 v[248:249], v[217:218], s[10:11], v[157:158]
	v_add_f64_e32 v[125:126], v[131:132], v[125:126]
	v_fma_f64 v[131:132], v[221:222], s[38:39], v[159:160]
	v_mul_f64_e32 v[157:158], s[18:19], v[244:245]
	s_delay_alu instid0(VALU_DEP_4) | instskip(SKIP_1) | instid1(VALU_DEP_4)
	v_add_f64_e32 v[127:128], v[248:249], v[127:128]
	v_fma_f64 v[248:249], v[221:222], s[20:21], v[159:160]
	v_add_f64_e32 v[129:130], v[131:132], v[129:130]
	v_fma_f64 v[131:132], v[229:230], s[14:15], -v[161:162]
	v_mul_f64_e32 v[159:160], s[34:35], v[44:45]
	s_delay_alu instid0(VALU_DEP_4) | instskip(SKIP_1) | instid1(VALU_DEP_4)
	v_add_f64_e32 v[240:241], v[248:249], v[240:241]
	v_fma_f64 v[248:249], v[229:230], s[14:15], v[161:162]
	v_add_f64_e32 v[125:126], v[131:132], v[125:126]
	v_fma_f64 v[131:132], v[233:234], s[36:37], v[163:164]
	v_mul_f64_e32 v[161:162], s[12:13], v[48:49]
	v_mul_f64_e32 v[48:49], s[10:11], v[48:49]
	v_add_f64_e32 v[127:128], v[248:249], v[127:128]
	v_fma_f64 v[248:249], v[233:234], s[24:25], v[163:164]
	v_add_f64_e32 v[129:130], v[131:132], v[129:130]
	v_fma_f64 v[131:132], v[151:152], s[28:29], -v[165:166]
	v_mul_f64_e32 v[163:164], s[30:31], v[139:140]
	s_delay_alu instid0(VALU_DEP_4) | instskip(SKIP_1) | instid1(VALU_DEP_4)
	v_add_f64_e32 v[240:241], v[248:249], v[240:241]
	v_fma_f64 v[248:249], v[151:152], s[28:29], v[165:166]
	v_add_f64_e32 v[252:253], v[131:132], v[125:126]
	v_fma_f64 v[125:126], v[187:188], s[4:5], v[157:158]
	v_mul_f64_e32 v[165:166], s[28:29], v[231:232]
	v_mul_f64_e32 v[231:232], s[16:17], v[231:232]
	v_add_f64_e32 v[248:249], v[248:249], v[127:128]
	v_mul_f64_e32 v[127:128], s[28:29], v[153:154]
	v_add_f64_e32 v[125:126], v[125:126], v[4:5]
	v_mul_f64_e32 v[4:5], s[42:43], v[139:140]
	v_mul_f64_e32 v[139:140], s[40:41], v[139:140]
	s_delay_alu instid0(VALU_DEP_4) | instskip(SKIP_1) | instid1(VALU_DEP_2)
	v_fma_f64 v[250:251], v[155:156], s[44:45], v[127:128]
	v_fma_f64 v[127:128], v[155:156], s[30:31], v[127:128]
	v_add_f64_e32 v[250:251], v[250:251], v[240:241]
	s_delay_alu instid0(VALU_DEP_2) | instskip(SKIP_2) | instid1(VALU_DEP_2)
	v_add_f64_e32 v[254:255], v[127:128], v[129:130]
	v_fma_f64 v[127:128], v[193:194], s[42:43], v[46:47]
	v_fma_f64 v[129:130], v[205:206], s[12:13], v[159:160]
	v_add_f64_e32 v[127:128], v[127:128], v[246:247]
	s_delay_alu instid0(VALU_DEP_2) | instskip(SKIP_2) | instid1(VALU_DEP_2)
	v_add_f64_e32 v[125:126], v[129:130], v[125:126]
	v_fma_f64 v[129:130], v[209:210], s[22:23], v[161:162]
	v_mul_f64_e32 v[246:247], s[26:27], v[237:238]
	v_add_f64_e32 v[127:128], v[129:130], v[127:128]
	v_fma_f64 v[129:130], v[217:218], s[28:29], v[163:164]
	s_delay_alu instid0(VALU_DEP_1) | instskip(SKIP_1) | instid1(VALU_DEP_1)
	v_add_f64_e32 v[125:126], v[129:130], v[125:126]
	v_fma_f64 v[129:130], v[221:222], s[44:45], v[165:166]
	v_add_f64_e32 v[127:128], v[129:130], v[127:128]
	v_fma_f64 v[129:130], v[229:230], s[16:17], v[246:247]
	s_delay_alu instid0(VALU_DEP_1) | instskip(SKIP_1) | instid1(VALU_DEP_1)
	v_add_f64_e32 v[125:126], v[129:130], v[125:126]
	v_fma_f64 v[129:130], v[233:234], s[40:41], v[14:15]
	v_add_f64_e32 v[127:128], v[129:130], v[127:128]
	v_fma_f64 v[129:130], v[151:152], s[10:11], v[143:144]
	s_delay_alu instid0(VALU_DEP_1) | instskip(SKIP_2) | instid1(VALU_DEP_2)
	v_add_f64_e32 v[240:241], v[129:130], v[125:126]
	v_fma_f64 v[125:126], v[155:156], s[38:39], v[6:7]
	v_fma_f64 v[6:7], v[155:156], s[20:21], v[6:7]
	v_add_f64_e32 v[242:243], v[125:126], v[127:128]
	v_fma_f64 v[125:126], v[187:188], s[10:11], v[171:172]
	s_delay_alu instid0(VALU_DEP_1) | instskip(SKIP_1) | instid1(VALU_DEP_1)
	v_add_f64_e32 v[125:126], v[125:126], v[133:134]
	v_mul_f64_e32 v[133:134], s[10:11], v[235:236]
	v_fma_f64 v[127:128], v[193:194], s[20:21], v[133:134]
	s_delay_alu instid0(VALU_DEP_1) | instskip(SKIP_1) | instid1(VALU_DEP_1)
	v_add_f64_e32 v[122:123], v[127:128], v[122:123]
	v_fma_f64 v[127:128], v[205:206], s[28:29], v[173:174]
	v_add_f64_e32 v[125:126], v[127:128], v[125:126]
	v_fma_f64 v[127:128], v[209:210], s[44:45], v[175:176]
	s_delay_alu instid0(VALU_DEP_1) | instskip(SKIP_1) | instid1(VALU_DEP_2)
	v_add_f64_e32 v[122:123], v[127:128], v[122:123]
	v_fma_f64 v[127:128], v[217:218], s[14:15], v[177:178]
	v_add_f64_e32 v[18:19], v[18:19], v[122:123]
	v_mul_f64_e32 v[122:123], s[42:43], v[237:238]
	s_delay_alu instid0(VALU_DEP_3) | instskip(SKIP_1) | instid1(VALU_DEP_4)
	v_add_f64_e32 v[125:126], v[127:128], v[125:126]
	v_mul_f64_e32 v[237:238], s[22:23], v[237:238]
	v_add_f64_e32 v[18:19], v[34:35], v[18:19]
	s_delay_alu instid0(VALU_DEP_4) | instskip(SKIP_2) | instid1(VALU_DEP_3)
	v_fma_f64 v[127:128], v[229:230], s[4:5], v[122:123]
	v_mul_f64_e32 v[34:35], s[40:41], v[149:150]
	v_mul_f64_e32 v[149:150], s[36:37], v[149:150]
	v_add_f64_e32 v[125:126], v[127:128], v[125:126]
	s_delay_alu instid0(VALU_DEP_3) | instskip(NEXT) | instid1(VALU_DEP_1)
	v_fma_f64 v[127:128], v[151:152], s[16:17], v[34:35]
	v_add_f64_e32 v[125:126], v[127:128], v[125:126]
	v_add_f64_e32 v[127:128], v[38:39], v[18:19]
	v_mul_f64_e32 v[18:19], s[36:37], v[244:245]
	s_delay_alu instid0(VALU_DEP_1) | instskip(NEXT) | instid1(VALU_DEP_1)
	v_fma_f64 v[38:39], v[187:188], s[14:15], v[18:19]
	v_add_f64_e32 v[38:39], v[38:39], v[135:136]
	v_mul_f64_e32 v[135:136], s[14:15], v[235:236]
	v_mul_f64_e32 v[235:236], s[28:29], v[235:236]
	s_delay_alu instid0(VALU_DEP_2) | instskip(NEXT) | instid1(VALU_DEP_1)
	v_fma_f64 v[129:130], v[193:194], s[24:25], v[135:136]
	v_add_f64_e32 v[129:130], v[129:130], v[179:180]
	v_mul_f64_e32 v[179:180], s[26:27], v[44:45]
	v_mul_f64_e32 v[44:45], s[20:21], v[44:45]
	s_delay_alu instid0(VALU_DEP_3) | instskip(NEXT) | instid1(VALU_DEP_3)
	v_add_f64_e32 v[42:43], v[42:43], v[129:130]
	v_fma_f64 v[131:132], v[205:206], s[16:17], v[179:180]
	v_fma_f64 v[129:130], v[217:218], s[4:5], v[4:5]
	v_fma_f64 v[4:5], v[217:218], s[4:5], -v[4:5]
	s_delay_alu instid0(VALU_DEP_3) | instskip(NEXT) | instid1(VALU_DEP_1)
	v_add_f64_e32 v[38:39], v[131:132], v[38:39]
	v_add_f64_e32 v[38:39], v[129:130], v[38:39]
	v_fma_f64 v[129:130], v[221:222], s[18:19], v[141:142]
	s_delay_alu instid0(VALU_DEP_1) | instskip(SKIP_1) | instid1(VALU_DEP_1)
	v_add_f64_e32 v[42:43], v[129:130], v[42:43]
	v_fma_f64 v[129:130], v[229:230], s[28:29], v[167:168]
	v_add_f64_e32 v[38:39], v[129:130], v[38:39]
	v_fma_f64 v[129:130], v[233:234], s[44:45], v[169:170]
	s_delay_alu instid0(VALU_DEP_1) | instskip(NEXT) | instid1(VALU_DEP_3)
	v_add_f64_e32 v[42:43], v[129:130], v[42:43]
	v_add_f64_e32 v[129:130], v[10:11], v[38:39]
	v_mul_f64_e32 v[10:11], s[12:13], v[153:154]
	v_mul_f64_e32 v[153:154], s[14:15], v[153:154]
	s_delay_alu instid0(VALU_DEP_2) | instskip(SKIP_1) | instid1(VALU_DEP_2)
	v_fma_f64 v[38:39], v[155:156], s[34:35], v[10:11]
	v_fma_f64 v[10:11], v[155:156], s[22:23], v[10:11]
	v_add_f64_e32 v[131:132], v[38:39], v[42:43]
	v_mul_f64_e32 v[38:39], s[30:31], v[244:245]
	s_delay_alu instid0(VALU_DEP_1) | instskip(SKIP_1) | instid1(VALU_DEP_2)
	v_fma_f64 v[42:43], v[187:188], s[28:29], v[38:39]
	v_fma_f64 v[38:39], v[187:188], s[28:29], -v[38:39]
	v_add_f64_e32 v[42:43], v[42:43], v[227:228]
	v_fma_f64 v[227:228], v[193:194], s[44:45], v[235:236]
	s_delay_alu instid0(VALU_DEP_3) | instskip(NEXT) | instid1(VALU_DEP_2)
	v_add_f64_e32 v[38:39], v[38:39], v[215:216]
	v_add_f64_e32 v[225:226], v[227:228], v[225:226]
	v_fma_f64 v[227:228], v[205:206], s[10:11], v[44:45]
	v_fma_f64 v[44:45], v[205:206], s[10:11], -v[44:45]
	s_delay_alu instid0(VALU_DEP_2) | instskip(SKIP_1) | instid1(VALU_DEP_3)
	v_add_f64_e32 v[42:43], v[227:228], v[42:43]
	v_fma_f64 v[227:228], v[209:210], s[38:39], v[48:49]
	v_add_f64_e32 v[38:39], v[44:45], v[38:39]
	v_fma_f64 v[44:45], v[209:210], s[20:21], v[48:49]
	s_delay_alu instid0(VALU_DEP_3) | instskip(SKIP_1) | instid1(VALU_DEP_1)
	v_add_f64_e32 v[225:226], v[227:228], v[225:226]
	v_fma_f64 v[227:228], v[217:218], s[16:17], v[139:140]
	v_add_f64_e32 v[42:43], v[227:228], v[42:43]
	v_fma_f64 v[227:228], v[221:222], s[26:27], v[231:232]
	s_delay_alu instid0(VALU_DEP_1) | instskip(SKIP_1) | instid1(VALU_DEP_1)
	v_add_f64_e32 v[225:226], v[227:228], v[225:226]
	v_fma_f64 v[227:228], v[229:230], s[12:13], v[237:238]
	v_add_f64_e32 v[42:43], v[227:228], v[42:43]
	v_fma_f64 v[227:228], v[233:234], s[34:35], v[12:13]
	v_fma_f64 v[12:13], v[233:234], s[22:23], v[12:13]
	s_delay_alu instid0(VALU_DEP_2) | instskip(SKIP_1) | instid1(VALU_DEP_1)
	v_add_f64_e32 v[227:228], v[227:228], v[225:226]
	v_fma_f64 v[225:226], v[151:152], s[14:15], v[149:150]
	v_add_f64_e32 v[225:226], v[225:226], v[42:43]
	v_fma_f64 v[42:43], v[155:156], s[24:25], v[153:154]
	s_delay_alu instid0(VALU_DEP_1) | instskip(SKIP_1) | instid1(VALU_DEP_1)
	v_add_f64_e32 v[227:228], v[42:43], v[227:228]
	v_fma_f64 v[42:43], v[193:194], s[30:31], v[235:236]
	v_add_f64_e32 v[42:43], v[42:43], v[213:214]
	s_delay_alu instid0(VALU_DEP_1) | instskip(SKIP_1) | instid1(VALU_DEP_1)
	v_add_f64_e32 v[42:43], v[44:45], v[42:43]
	v_fma_f64 v[44:45], v[217:218], s[16:17], -v[139:140]
	v_add_f64_e32 v[38:39], v[44:45], v[38:39]
	v_fma_f64 v[44:45], v[221:222], s[40:41], v[231:232]
	s_delay_alu instid0(VALU_DEP_1) | instskip(SKIP_1) | instid1(VALU_DEP_2)
	v_add_f64_e32 v[42:43], v[44:45], v[42:43]
	v_fma_f64 v[44:45], v[229:230], s[12:13], -v[237:238]
	v_add_f64_e32 v[12:13], v[12:13], v[42:43]
	s_delay_alu instid0(VALU_DEP_2) | instskip(SKIP_2) | instid1(VALU_DEP_2)
	v_add_f64_e32 v[38:39], v[44:45], v[38:39]
	v_fma_f64 v[44:45], v[155:156], s[36:37], v[153:154]
	v_fma_f64 v[42:43], v[151:152], s[14:15], -v[149:150]
	v_add_f64_e32 v[215:216], v[44:45], v[12:13]
	v_fma_f64 v[12:13], v[187:188], s[14:15], -v[18:19]
	s_delay_alu instid0(VALU_DEP_3) | instskip(SKIP_2) | instid1(VALU_DEP_4)
	v_add_f64_e32 v[213:214], v[42:43], v[38:39]
	v_fma_f64 v[18:19], v[193:194], s[36:37], v[135:136]
	v_fma_f64 v[38:39], v[205:206], s[16:17], -v[179:180]
	v_add_f64_e32 v[12:13], v[12:13], v[203:204]
	s_delay_alu instid0(VALU_DEP_3) | instskip(NEXT) | instid1(VALU_DEP_2)
	v_add_f64_e32 v[18:19], v[18:19], v[201:202]
	v_add_f64_e32 v[12:13], v[38:39], v[12:13]
	v_fma_f64 v[38:39], v[209:210], s[26:27], v[40:41]
	s_delay_alu instid0(VALU_DEP_2) | instskip(NEXT) | instid1(VALU_DEP_2)
	v_add_f64_e32 v[4:5], v[4:5], v[12:13]
	v_add_f64_e32 v[18:19], v[38:39], v[18:19]
	v_fma_f64 v[12:13], v[221:222], s[42:43], v[141:142]
	s_delay_alu instid0(VALU_DEP_1) | instskip(SKIP_1) | instid1(VALU_DEP_1)
	v_add_f64_e32 v[12:13], v[12:13], v[18:19]
	v_fma_f64 v[18:19], v[229:230], s[28:29], -v[167:168]
	v_add_f64_e32 v[4:5], v[18:19], v[4:5]
	v_fma_f64 v[18:19], v[233:234], s[30:31], v[169:170]
	s_delay_alu instid0(VALU_DEP_2) | instskip(NEXT) | instid1(VALU_DEP_2)
	v_add_f64_e32 v[201:202], v[8:9], v[4:5]
	v_add_f64_e32 v[12:13], v[18:19], v[12:13]
	v_fma_f64 v[4:5], v[187:188], s[10:11], -v[171:172]
	v_fma_f64 v[8:9], v[193:194], s[38:39], v[133:134]
	s_delay_alu instid0(VALU_DEP_3) | instskip(NEXT) | instid1(VALU_DEP_3)
	v_add_f64_e32 v[203:204], v[10:11], v[12:13]
	v_add_f64_e32 v[4:5], v[4:5], v[199:200]
	v_fma_f64 v[10:11], v[205:206], s[28:29], -v[173:174]
	s_delay_alu instid0(VALU_DEP_4) | instskip(SKIP_1) | instid1(VALU_DEP_3)
	v_add_f64_e32 v[8:9], v[8:9], v[197:198]
	v_fma_f64 v[12:13], v[155:156], s[40:41], v[36:37]
	v_add_f64_e32 v[4:5], v[10:11], v[4:5]
	v_fma_f64 v[10:11], v[209:210], s[30:31], v[175:176]
	s_delay_alu instid0(VALU_DEP_1) | instskip(SKIP_1) | instid1(VALU_DEP_1)
	v_add_f64_e32 v[8:9], v[10:11], v[8:9]
	v_fma_f64 v[10:11], v[217:218], s[14:15], -v[177:178]
	v_add_f64_e32 v[4:5], v[10:11], v[4:5]
	v_fma_f64 v[10:11], v[221:222], s[24:25], v[16:17]
	s_delay_alu instid0(VALU_DEP_1) | instskip(SKIP_1) | instid1(VALU_DEP_1)
	v_add_f64_e32 v[8:9], v[10:11], v[8:9]
	v_fma_f64 v[10:11], v[229:230], s[4:5], -v[122:123]
	v_add_f64_e32 v[4:5], v[10:11], v[4:5]
	v_fma_f64 v[10:11], v[233:234], s[42:43], v[32:33]
	s_delay_alu instid0(VALU_DEP_1) | instskip(SKIP_1) | instid1(VALU_DEP_2)
	v_add_f64_e32 v[8:9], v[10:11], v[8:9]
	v_fma_f64 v[10:11], v[151:152], s[16:17], -v[34:35]
	v_add_f64_e32 v[199:200], v[12:13], v[8:9]
	s_delay_alu instid0(VALU_DEP_2)
	v_add_f64_e32 v[197:198], v[10:11], v[4:5]
	v_fma_f64 v[4:5], v[187:188], s[4:5], -v[157:158]
	scratch_load_b64 v[12:13], off, off offset:336 th:TH_LOAD_LU ; 8-byte Folded Reload
	v_fma_f64 v[8:9], v[193:194], s[18:19], v[46:47]
	v_fma_f64 v[10:11], v[205:206], s[12:13], -v[159:160]
	v_add_f64_e32 v[4:5], v[4:5], v[181:182]
	s_delay_alu instid0(VALU_DEP_3) | instskip(NEXT) | instid1(VALU_DEP_2)
	v_add_f64_e32 v[8:9], v[8:9], v[183:184]
	v_add_f64_e32 v[4:5], v[10:11], v[4:5]
	v_fma_f64 v[10:11], v[209:210], s[34:35], v[161:162]
	s_delay_alu instid0(VALU_DEP_1) | instskip(SKIP_1) | instid1(VALU_DEP_1)
	v_add_f64_e32 v[8:9], v[10:11], v[8:9]
	v_fma_f64 v[10:11], v[217:218], s[28:29], -v[163:164]
	v_add_f64_e32 v[4:5], v[10:11], v[4:5]
	v_fma_f64 v[10:11], v[221:222], s[30:31], v[165:166]
	s_delay_alu instid0(VALU_DEP_1) | instskip(SKIP_1) | instid1(VALU_DEP_1)
	v_add_f64_e32 v[8:9], v[10:11], v[8:9]
	v_fma_f64 v[10:11], v[229:230], s[16:17], -v[246:247]
	v_add_f64_e32 v[4:5], v[10:11], v[4:5]
	v_fma_f64 v[10:11], v[233:234], s[26:27], v[14:15]
	v_fma_f64 v[14:15], v[221:222], s[22:23], v[223:224]
	s_delay_alu instid0(VALU_DEP_2) | instskip(SKIP_1) | instid1(VALU_DEP_2)
	v_add_f64_e32 v[8:9], v[10:11], v[8:9]
	v_fma_f64 v[10:11], v[151:152], s[10:11], -v[143:144]
	v_add_f64_e32 v[135:136], v[6:7], v[8:9]
	s_delay_alu instid0(VALU_DEP_2)
	v_add_f64_e32 v[133:134], v[10:11], v[4:5]
	v_fma_f64 v[4:5], v[187:188], s[16:17], -v[191:192]
	v_fma_f64 v[6:7], v[193:194], s[26:27], v[195:196]
	v_fma_f64 v[8:9], v[205:206], s[14:15], -v[207:208]
	v_fma_f64 v[10:11], v[209:210], s[24:25], v[211:212]
	s_wait_loadcnt 0x0
	s_delay_alu instid0(VALU_DEP_4)
	v_add_f64_e32 v[4:5], v[4:5], v[12:13]
	scratch_load_b64 v[12:13], off, off offset:344 th:TH_LOAD_LU ; 8-byte Folded Reload
	v_add_f64_e32 v[4:5], v[8:9], v[4:5]
	v_fma_f64 v[8:9], v[229:230], s[10:11], -v[108:109]
	s_wait_loadcnt 0x0
	v_add_f64_e32 v[6:7], v[6:7], v[12:13]
	v_fma_f64 v[12:13], v[217:218], s[12:13], -v[219:220]
	s_delay_alu instid0(VALU_DEP_2) | instskip(SKIP_1) | instid1(VALU_DEP_3)
	v_add_f64_e32 v[6:7], v[10:11], v[6:7]
	v_fma_f64 v[10:11], v[233:234], s[20:21], v[106:107]
	v_add_f64_e32 v[4:5], v[12:13], v[4:5]
	v_fma_f64 v[12:13], v[151:152], s[4:5], -v[104:105]
	s_delay_alu instid0(VALU_DEP_4) | instskip(SKIP_1) | instid1(VALU_DEP_4)
	v_add_f64_e32 v[6:7], v[14:15], v[6:7]
	v_fma_f64 v[14:15], v[155:156], s[18:19], v[50:51]
	v_add_f64_e32 v[4:5], v[8:9], v[4:5]
	s_delay_alu instid0(VALU_DEP_3) | instskip(NEXT) | instid1(VALU_DEP_2)
	v_add_f64_e32 v[6:7], v[10:11], v[6:7]
	v_add_f64_e32 v[181:182], v[12:13], v[4:5]
	s_delay_alu instid0(VALU_DEP_2)
	v_add_f64_e32 v[183:184], v[14:15], v[6:7]
	s_clause 0x1
	scratch_load_b64 v[4:5], off, off offset:320 th:TH_LOAD_LU
	scratch_load_b64 v[6:7], off, off offset:360 th:TH_LOAD_LU
	s_wait_loadcnt 0x0
	v_add_f64_e32 v[4:5], v[4:5], v[6:7]
	s_clause 0x1
	scratch_load_b64 v[6:7], off, off offset:328 th:TH_LOAD_LU
	scratch_load_b64 v[8:9], off, off offset:352 th:TH_LOAD_LU
	s_wait_loadcnt 0x0
	v_add_f64_e32 v[6:7], v[6:7], v[8:9]
	scratch_load_b64 v[8:9], off, off offset:376 th:TH_LOAD_LU ; 8-byte Folded Reload
	s_wait_loadcnt 0x0
	v_add_f64_e32 v[4:5], v[4:5], v[8:9]
	scratch_load_b64 v[8:9], off, off offset:368 th:TH_LOAD_LU ; 8-byte Folded Reload
	s_wait_loadcnt 0x0
	v_add_f64_e32 v[6:7], v[6:7], v[8:9]
	scratch_load_b64 v[8:9], off, off offset:392 th:TH_LOAD_LU ; 8-byte Folded Reload
	s_wait_loadcnt 0x0
	v_add_f64_e32 v[4:5], v[4:5], v[8:9]
	scratch_load_b64 v[8:9], off, off offset:384 th:TH_LOAD_LU ; 8-byte Folded Reload
	s_wait_loadcnt 0x0
	v_add_f64_e32 v[6:7], v[6:7], v[8:9]
	scratch_load_b64 v[8:9], off, off offset:424 th:TH_LOAD_LU ; 8-byte Folded Reload
	s_wait_loadcnt 0x0
	v_add_f64_e32 v[4:5], v[4:5], v[8:9]
	scratch_load_b64 v[8:9], off, off offset:416 th:TH_LOAD_LU ; 8-byte Folded Reload
	v_add_f64_e32 v[4:5], v[4:5], v[185:186]
	s_wait_loadcnt 0x0
	v_add_f64_e32 v[6:7], v[6:7], v[8:9]
	scratch_load_b64 v[8:9], off, off offset:440 th:TH_LOAD_LU ; 8-byte Folded Reload
	v_add_f64_e32 v[6:7], v[6:7], v[189:190]
	s_wait_loadcnt 0x0
	v_add_f64_e32 v[4:5], v[4:5], v[8:9]
	scratch_load_b64 v[8:9], off, off offset:432 th:TH_LOAD_LU ; 8-byte Folded Reload
	s_wait_loadcnt 0x0
	v_add_f64_e32 v[6:7], v[6:7], v[8:9]
	scratch_load_b64 v[8:9], off, off offset:408 th:TH_LOAD_LU ; 8-byte Folded Reload
	;; [unrolled: 3-line block ×3, first 2 shown]
	v_add_f64_e32 v[4:5], v[4:5], v[147:148]
	s_delay_alu instid0(VALU_DEP_1) | instskip(NEXT) | instid1(VALU_DEP_1)
	v_add_f64_e32 v[4:5], v[4:5], v[137:138]
	v_add_f64_e32 v[4:5], v[4:5], v[112:113]
	s_wait_loadcnt 0x0
	v_add_f64_e32 v[6:7], v[6:7], v[8:9]
	scratch_load_b64 v[8:9], off, off offset:312 th:TH_LOAD_LU ; 8-byte Folded Reload
	v_add_f64_e32 v[6:7], v[6:7], v[145:146]
	s_delay_alu instid0(VALU_DEP_1) | instskip(NEXT) | instid1(VALU_DEP_1)
	v_add_f64_e32 v[6:7], v[6:7], v[114:115]
	v_add_f64_e32 v[6:7], v[6:7], v[110:111]
	s_wait_loadcnt 0x0
	v_add_f64_e32 v[104:105], v[4:5], v[8:9]
	scratch_load_b64 v[4:5], off, off offset:304 th:TH_LOAD_LU ; 8-byte Folded Reload
	global_wb scope:SCOPE_SE
	s_wait_loadcnt 0x0
	s_wait_storecnt 0x0
	s_barrier_signal -1
	s_barrier_wait -1
	global_inv scope:SCOPE_SE
	v_add_f64_e32 v[106:107], v[6:7], v[4:5]
	v_lshrrev_b32_e32 v4, 2, v116
	s_delay_alu instid0(VALU_DEP_1) | instskip(NEXT) | instid1(VALU_DEP_1)
	v_mul_u32_u24_e32 v4, 52, v4
	v_or_b32_e32 v4, v4, v117
	s_delay_alu instid0(VALU_DEP_1)
	v_lshl_add_u32 v4, v4, 4, 0
	ds_store_b128 v4, v[248:251] offset:128
	ds_store_b128 v4, v[240:243] offset:192
	;; [unrolled: 1-line block ×12, first 2 shown]
	ds_store_b128 v4, v[104:107]
	scratch_load_b32 v4, off, off offset:140 th:TH_LOAD_LU ; 4-byte Folded Reload
	s_wait_loadcnt 0x0
	v_sub_nc_u32_e32 v103, 0, v4
	v_lshlrev_b32_e32 v4, 4, v124
	s_delay_alu instid0(VALU_DEP_1)
	v_sub_nc_u32_e32 v104, 0, v4
	scratch_load_b32 v4, off, off offset:144 th:TH_LOAD_LU ; 4-byte Folded Reload
	s_wait_loadcnt 0x0
	v_sub_nc_u32_e32 v105, 0, v4
	scratch_load_b32 v4, off, off offset:148 th:TH_LOAD_LU ; 4-byte Folded Reload
	s_wait_loadcnt 0x0
	;; [unrolled: 3-line block ×4, first 2 shown]
	v_sub_nc_u32_e32 v102, 0, v4
	s_and_saveexec_b32 s1, s0
	s_cbranch_execz .LBB0_17
; %bb.16:
	scratch_load_b128 v[6:9], off, off offset:256 th:TH_LOAD_LU ; 16-byte Folded Reload
	v_mul_f64_e32 v[4:5], v[22:23], v[94:95]
	s_clause 0x1
	scratch_load_b128 v[14:17], off, off offset:240 th:TH_LOAD_LU
	scratch_load_b128 v[44:47], off, off offset:160 th:TH_LOAD_LU
	v_fma_f64 v[100:101], v[20:21], v[92:93], v[4:5]
	v_mul_f64_e32 v[4:5], v[20:21], v[94:95]
	s_delay_alu instid0(VALU_DEP_1) | instskip(SKIP_2) | instid1(VALU_DEP_1)
	v_fma_f64 v[22:23], v[22:23], v[92:93], -v[4:5]
	s_wait_loadcnt 0x2
	v_mul_f64_e32 v[4:5], v[8:9], v[98:99]
	v_fma_f64 v[20:21], v[6:7], v[96:97], v[4:5]
	v_mul_f64_e32 v[4:5], v[6:7], v[98:99]
	s_delay_alu instid0(VALU_DEP_2) | instskip(NEXT) | instid1(VALU_DEP_2)
	v_add_f64_e64 v[159:160], v[100:101], -v[20:21]
	v_fma_f64 v[40:41], v[8:9], v[96:97], -v[4:5]
	scratch_load_b128 v[6:9], off, off offset:224 th:TH_LOAD_LU ; 16-byte Folded Reload
	v_add_f64_e32 v[167:168], v[100:101], v[20:21]
	v_mul_f64_e32 v[163:164], s[36:37], v[159:160]
	v_add_f64_e64 v[165:166], v[22:23], -v[40:41]
	v_add_f64_e32 v[161:162], v[22:23], v[40:41]
	v_mul_f64_e32 v[187:188], s[30:31], v[159:160]
	v_mul_f64_e32 v[207:208], s[20:21], v[159:160]
	s_delay_alu instid0(VALU_DEP_4)
	v_mul_f64_e32 v[169:170], s[36:37], v[165:166]
	v_mul_f64_e32 v[171:172], s[40:41], v[165:166]
	;; [unrolled: 1-line block ×4, first 2 shown]
	s_wait_loadcnt 0x0
	v_mul_f64_e32 v[4:5], v[8:9], v[86:87]
	s_delay_alu instid0(VALU_DEP_1) | instskip(SKIP_1) | instid1(VALU_DEP_1)
	v_fma_f64 v[42:43], v[6:7], v[84:85], v[4:5]
	v_mul_f64_e32 v[4:5], v[6:7], v[86:87]
	v_fma_f64 v[34:35], v[8:9], v[84:85], -v[4:5]
	scratch_load_b128 v[6:9], off, off offset:192 th:TH_LOAD_LU ; 16-byte Folded Reload
	v_mul_f64_e32 v[4:5], v[30:31], v[90:91]
	s_delay_alu instid0(VALU_DEP_1) | instskip(SKIP_1) | instid1(VALU_DEP_2)
	v_fma_f64 v[32:33], v[28:29], v[88:89], v[4:5]
	v_mul_f64_e32 v[4:5], v[28:29], v[90:91]
	v_add_f64_e64 v[149:150], v[42:43], -v[32:33]
	s_delay_alu instid0(VALU_DEP_2) | instskip(SKIP_1) | instid1(VALU_DEP_3)
	v_fma_f64 v[28:29], v[30:31], v[88:89], -v[4:5]
	v_add_f64_e32 v[155:156], v[42:43], v[32:33]
	v_mul_f64_e32 v[183:184], s[36:37], v[149:150]
	s_delay_alu instid0(VALU_DEP_3) | instskip(SKIP_2) | instid1(VALU_DEP_2)
	v_add_f64_e32 v[151:152], v[34:35], v[28:29]
	v_add_f64_e64 v[153:154], v[34:35], -v[28:29]
	v_mul_f64_e32 v[203:204], s[26:27], v[149:150]
	v_mul_f64_e32 v[185:186], s[36:37], v[153:154]
	;; [unrolled: 1-line block ×3, first 2 shown]
	s_wait_loadcnt 0x0
	v_mul_f64_e32 v[4:5], v[6:7], v[54:55]
	s_delay_alu instid0(VALU_DEP_1) | instskip(SKIP_1) | instid1(VALU_DEP_1)
	v_fma_f64 v[84:85], v[8:9], v[52:53], -v[4:5]
	v_mul_f64_e32 v[4:5], v[8:9], v[54:55]
	v_fma_f64 v[54:55], v[6:7], v[52:53], v[4:5]
	scratch_load_b128 v[6:9], off, off offset:176 th:TH_LOAD_LU ; 16-byte Folded Reload
	s_wait_loadcnt 0x0
	v_mul_f64_e32 v[4:5], v[8:9], v[74:75]
	s_delay_alu instid0(VALU_DEP_1) | instskip(SKIP_1) | instid1(VALU_DEP_1)
	v_fma_f64 v[12:13], v[6:7], v[72:73], v[4:5]
	v_mul_f64_e32 v[4:5], v[6:7], v[74:75]
	v_fma_f64 v[30:31], v[8:9], v[72:73], -v[4:5]
	v_mul_f64_e32 v[4:5], v[16:17], v[82:83]
	s_delay_alu instid0(VALU_DEP_1) | instskip(SKIP_1) | instid1(VALU_DEP_2)
	v_fma_f64 v[8:9], v[14:15], v[80:81], v[4:5]
	v_mul_f64_e32 v[4:5], v[14:15], v[82:83]
	v_add_f64_e64 v[141:142], v[12:13], -v[8:9]
	s_delay_alu instid0(VALU_DEP_2)
	v_fma_f64 v[10:11], v[16:17], v[80:81], -v[4:5]
	scratch_load_b128 v[14:17], off, off offset:208 th:TH_LOAD_LU ; 16-byte Folded Reload
	v_add_f64_e32 v[147:148], v[12:13], v[8:9]
	v_mul_f64_e32 v[179:180], s[38:39], v[141:142]
	v_add_f64_e32 v[143:144], v[30:31], v[10:11]
	v_add_f64_e64 v[145:146], v[30:31], -v[10:11]
	v_mul_f64_e32 v[199:200], s[30:31], v[141:142]
	s_delay_alu instid0(VALU_DEP_2) | instskip(SKIP_3) | instid1(VALU_DEP_1)
	v_mul_f64_e32 v[181:182], s[38:39], v[145:146]
	v_mul_f64_e32 v[201:202], s[30:31], v[145:146]
	s_wait_loadcnt 0x0
	v_mul_f64_e32 v[4:5], v[16:17], v[70:71]
	v_fma_f64 v[36:37], v[14:15], v[68:69], v[4:5]
	v_mul_f64_e32 v[4:5], v[14:15], v[70:71]
	s_delay_alu instid0(VALU_DEP_1) | instskip(SKIP_1) | instid1(VALU_DEP_1)
	v_fma_f64 v[38:39], v[16:17], v[68:69], -v[4:5]
	v_mul_f64_e32 v[4:5], v[26:27], v[78:79]
	v_fma_f64 v[14:15], v[24:25], v[76:77], v[4:5]
	v_mul_f64_e32 v[4:5], v[24:25], v[78:79]
	s_delay_alu instid0(VALU_DEP_2) | instskip(NEXT) | instid1(VALU_DEP_2)
	v_add_f64_e64 v[133:134], v[36:37], -v[14:15]
	v_fma_f64 v[16:17], v[26:27], v[76:77], -v[4:5]
	v_mul_f64_e32 v[4:5], v[46:47], v[62:63]
	v_add_f64_e32 v[139:140], v[36:37], v[14:15]
	s_delay_alu instid0(VALU_DEP_4) | instskip(NEXT) | instid1(VALU_DEP_4)
	v_mul_f64_e32 v[175:176], s[18:19], v[133:134]
	v_add_f64_e32 v[135:136], v[38:39], v[16:17]
	s_delay_alu instid0(VALU_DEP_4) | instskip(SKIP_3) | instid1(VALU_DEP_3)
	v_fma_f64 v[26:27], v[44:45], v[60:61], v[4:5]
	v_mul_f64_e32 v[4:5], v[44:45], v[62:63]
	v_add_f64_e64 v[137:138], v[38:39], -v[16:17]
	v_mul_f64_e32 v[195:196], s[34:35], v[133:134]
	v_fma_f64 v[52:53], v[46:47], v[60:61], -v[4:5]
	scratch_load_b128 v[44:47], off, off offset:272 th:TH_LOAD_LU ; 16-byte Folded Reload
	v_mul_f64_e32 v[177:178], s[18:19], v[137:138]
	v_mul_f64_e32 v[197:198], s[34:35], v[137:138]
	s_wait_loadcnt 0x0
	v_mul_f64_e32 v[4:5], v[46:47], v[66:67]
	v_mul_f64_e32 v[6:7], v[44:45], v[66:67]
	s_delay_alu instid0(VALU_DEP_2) | instskip(NEXT) | instid1(VALU_DEP_2)
	v_fma_f64 v[4:5], v[44:45], v[64:65], v[4:5]
	v_fma_f64 v[18:19], v[46:47], v[64:65], -v[6:7]
	scratch_load_b128 v[44:47], off, off offset:288 th:TH_LOAD_LU ; 16-byte Folded Reload
	v_add_f64_e64 v[127:128], v[26:27], -v[4:5]
	v_add_f64_e64 v[129:130], v[52:53], -v[18:19]
	v_add_f64_e32 v[131:132], v[26:27], v[4:5]
	s_delay_alu instid0(VALU_DEP_3) | instskip(SKIP_1) | instid1(VALU_DEP_4)
	v_mul_f64_e32 v[173:174], s[22:23], v[127:128]
	v_mul_f64_e32 v[191:192], s[18:19], v[127:128]
	;; [unrolled: 1-line block ×3, first 2 shown]
	s_wait_loadcnt 0x0
	v_mul_f64_e32 v[6:7], v[46:47], v[58:59]
	v_mul_f64_e32 v[24:25], v[44:45], v[58:59]
	s_delay_alu instid0(VALU_DEP_2) | instskip(NEXT) | instid1(VALU_DEP_2)
	v_fma_f64 v[6:7], v[44:45], v[56:57], v[6:7]
	v_fma_f64 v[24:25], v[46:47], v[56:57], -v[24:25]
	s_delay_alu instid0(VALU_DEP_2) | instskip(NEXT) | instid1(VALU_DEP_2)
	v_add_f64_e64 v[44:45], v[54:55], -v[6:7]
	v_add_f64_e32 v[60:61], v[84:85], v[24:25]
	v_add_f64_e32 v[86:87], v[54:55], v[6:7]
	s_delay_alu instid0(VALU_DEP_3)
	v_mul_f64_e32 v[46:47], s[18:19], v[44:45]
	v_mul_f64_e32 v[48:49], s[20:21], v[44:45]
	;; [unrolled: 1-line block ×6, first 2 shown]
	v_fma_f64 v[62:63], v[60:61], s[4:5], v[46:47]
	v_fma_f64 v[64:65], v[60:61], s[4:5], -v[46:47]
	v_fma_f64 v[66:67], v[60:61], s[10:11], v[48:49]
	v_fma_f64 v[48:49], v[60:61], s[10:11], -v[48:49]
	;; [unrolled: 2-line block ×6, first 2 shown]
	v_add_f64_e64 v[44:45], v[84:85], -v[24:25]
	v_add_f64_e32 v[64:65], v[2:3], v[64:65]
	v_add_f64_e32 v[66:67], v[2:3], v[66:67]
	;; [unrolled: 1-line block ×6, first 2 shown]
	v_mul_f64_e32 v[58:59], s[30:31], v[127:128]
	v_mul_f64_e32 v[46:47], s[18:19], v[44:45]
	;; [unrolled: 1-line block ×7, first 2 shown]
	v_fma_f64 v[88:89], v[86:87], s[4:5], -v[46:47]
	v_fma_f64 v[90:91], v[86:87], s[4:5], v[46:47]
	v_fma_f64 v[92:93], v[86:87], s[10:11], -v[76:77]
	v_fma_f64 v[76:77], v[86:87], s[10:11], v[76:77]
	;; [unrolled: 2-line block ×6, first 2 shown]
	v_add_f64_e32 v[44:45], v[2:3], v[84:85]
	v_add_f64_e32 v[46:47], v[0:1], v[54:55]
	;; [unrolled: 1-line block ×21, first 2 shown]
	v_mul_f64_e32 v[60:61], s[30:31], v[129:130]
	v_add_f64_e32 v[26:27], v[46:47], v[26:27]
	v_fma_f64 v[56:57], v[0:1], s[28:29], v[58:59]
	v_fma_f64 v[58:59], v[0:1], s[28:29], -v[58:59]
	s_delay_alu instid0(VALU_DEP_3) | instskip(NEXT) | instid1(VALU_DEP_3)
	v_add_f64_e32 v[26:27], v[26:27], v[36:37]
	v_add_f64_e32 v[54:55], v[56:57], v[54:55]
	v_fma_f64 v[56:57], v[131:132], s[28:29], -v[60:61]
	s_delay_alu instid0(VALU_DEP_4)
	v_add_f64_e32 v[58:59], v[58:59], v[64:65]
	v_fma_f64 v[60:61], v[131:132], s[28:29], v[60:61]
	v_fma_f64 v[64:65], v[167:168], s[14:15], v[169:170]
	v_add_f64_e32 v[12:13], v[26:27], v[12:13]
	v_add_f64_e32 v[56:57], v[56:57], v[62:63]
	v_mul_f64_e32 v[62:63], s[20:21], v[133:134]
	v_add_f64_e32 v[60:61], v[60:61], v[84:85]
	s_delay_alu instid0(VALU_DEP_4) | instskip(NEXT) | instid1(VALU_DEP_3)
	v_add_f64_e32 v[12:13], v[12:13], v[42:43]
	v_fma_f64 v[68:69], v[135:136], s[10:11], v[62:63]
	v_fma_f64 v[62:63], v[135:136], s[10:11], -v[62:63]
	s_delay_alu instid0(VALU_DEP_3) | instskip(NEXT) | instid1(VALU_DEP_3)
	v_add_f64_e32 v[12:13], v[12:13], v[100:101]
	v_add_f64_e32 v[54:55], v[68:69], v[54:55]
	v_mul_f64_e32 v[68:69], s[20:21], v[137:138]
	s_delay_alu instid0(VALU_DEP_4) | instskip(NEXT) | instid1(VALU_DEP_4)
	v_add_f64_e32 v[58:59], v[62:63], v[58:59]
	v_add_f64_e32 v[12:13], v[12:13], v[20:21]
	s_delay_alu instid0(VALU_DEP_3) | instskip(SKIP_2) | instid1(VALU_DEP_4)
	v_fma_f64 v[70:71], v[139:140], s[10:11], -v[68:69]
	v_fma_f64 v[62:63], v[139:140], s[10:11], v[68:69]
	v_mul_f64_e32 v[68:69], s[36:37], v[127:128]
	v_add_f64_e32 v[12:13], v[12:13], v[32:33]
	s_delay_alu instid0(VALU_DEP_4) | instskip(SKIP_2) | instid1(VALU_DEP_4)
	v_add_f64_e32 v[56:57], v[70:71], v[56:57]
	v_mul_f64_e32 v[70:71], s[40:41], v[141:142]
	v_add_f64_e32 v[60:61], v[62:63], v[60:61]
	v_add_f64_e32 v[8:9], v[12:13], v[8:9]
	s_delay_alu instid0(VALU_DEP_3) | instskip(SKIP_2) | instid1(VALU_DEP_4)
	v_fma_f64 v[72:73], v[143:144], s[16:17], v[70:71]
	v_fma_f64 v[62:63], v[143:144], s[16:17], -v[70:71]
	v_mul_f64_e32 v[70:71], s[26:27], v[133:134]
	v_add_f64_e32 v[8:9], v[8:9], v[14:15]
	s_delay_alu instid0(VALU_DEP_4) | instskip(SKIP_2) | instid1(VALU_DEP_4)
	v_add_f64_e32 v[54:55], v[72:73], v[54:55]
	v_mul_f64_e32 v[72:73], s[40:41], v[145:146]
	v_add_f64_e32 v[58:59], v[62:63], v[58:59]
	v_add_f64_e32 v[8:9], v[8:9], v[4:5]
	s_delay_alu instid0(VALU_DEP_3) | instskip(SKIP_3) | instid1(VALU_DEP_4)
	v_fma_f64 v[74:75], v[147:148], s[16:17], -v[72:73]
	v_fma_f64 v[62:63], v[147:148], s[16:17], v[72:73]
	v_fma_f64 v[72:73], v[135:136], s[16:17], v[70:71]
	v_fma_f64 v[70:71], v[135:136], s[16:17], -v[70:71]
	v_add_f64_e32 v[56:57], v[74:75], v[56:57]
	v_mul_f64_e32 v[74:75], s[22:23], v[149:150]
	v_add_f64_e32 v[60:61], v[62:63], v[60:61]
	s_delay_alu instid0(VALU_DEP_2) | instskip(SKIP_1) | instid1(VALU_DEP_2)
	v_fma_f64 v[86:87], v[151:152], s[12:13], v[74:75]
	v_fma_f64 v[62:63], v[151:152], s[12:13], -v[74:75]
	v_add_f64_e32 v[54:55], v[86:87], v[54:55]
	v_mul_f64_e32 v[86:87], s[22:23], v[153:154]
	s_delay_alu instid0(VALU_DEP_3) | instskip(NEXT) | instid1(VALU_DEP_2)
	v_add_f64_e32 v[58:59], v[62:63], v[58:59]
	v_fma_f64 v[62:63], v[155:156], s[12:13], v[86:87]
	v_fma_f64 v[157:158], v[155:156], s[12:13], -v[86:87]
	s_delay_alu instid0(VALU_DEP_2) | instskip(SKIP_1) | instid1(VALU_DEP_3)
	v_add_f64_e32 v[62:63], v[62:63], v[60:61]
	v_fma_f64 v[60:61], v[161:162], s[14:15], -v[163:164]
	v_add_f64_e32 v[157:158], v[157:158], v[56:57]
	v_fma_f64 v[56:57], v[161:162], s[14:15], v[163:164]
	v_mul_f64_e32 v[163:164], s[22:23], v[159:160]
	s_delay_alu instid0(VALU_DEP_4)
	v_add_f64_e32 v[60:61], v[60:61], v[58:59]
	v_add_f64_e32 v[58:59], v[64:65], v[62:63]
	v_fma_f64 v[62:63], v[0:1], s[14:15], v[68:69]
	v_fma_f64 v[68:69], v[0:1], s[14:15], -v[68:69]
	v_add_f64_e32 v[56:57], v[56:57], v[54:55]
	v_fma_f64 v[54:55], v[167:168], s[14:15], -v[169:170]
	v_mul_f64_e32 v[169:170], s[22:23], v[165:166]
	v_add_f64_e32 v[62:63], v[62:63], v[66:67]
	v_mul_f64_e32 v[66:67], s[36:37], v[129:130]
	v_add_f64_e32 v[68:69], v[68:69], v[90:91]
	v_add_f64_e32 v[54:55], v[54:55], v[157:158]
	v_mul_f64_e32 v[90:91], s[30:31], v[137:138]
	v_add_f64_e32 v[62:63], v[72:73], v[62:63]
	v_fma_f64 v[64:65], v[131:132], s[14:15], -v[66:67]
	v_mul_f64_e32 v[72:73], s[26:27], v[137:138]
	v_fma_f64 v[66:67], v[131:132], s[14:15], v[66:67]
	v_add_f64_e32 v[68:69], v[70:71], v[68:69]
	s_delay_alu instid0(VALU_DEP_4) | instskip(NEXT) | instid1(VALU_DEP_4)
	v_add_f64_e32 v[64:65], v[64:65], v[88:89]
	v_fma_f64 v[74:75], v[139:140], s[16:17], -v[72:73]
	s_delay_alu instid0(VALU_DEP_4) | instskip(SKIP_2) | instid1(VALU_DEP_4)
	v_add_f64_e32 v[66:67], v[66:67], v[76:77]
	v_fma_f64 v[70:71], v[139:140], s[16:17], v[72:73]
	v_fma_f64 v[72:73], v[167:168], s[12:13], v[169:170]
	v_add_f64_e32 v[64:65], v[74:75], v[64:65]
	v_mul_f64_e32 v[74:75], s[42:43], v[141:142]
	s_delay_alu instid0(VALU_DEP_4) | instskip(NEXT) | instid1(VALU_DEP_2)
	v_add_f64_e32 v[66:67], v[70:71], v[66:67]
	v_fma_f64 v[84:85], v[143:144], s[4:5], v[74:75]
	v_fma_f64 v[70:71], v[143:144], s[4:5], -v[74:75]
	s_delay_alu instid0(VALU_DEP_2) | instskip(SKIP_1) | instid1(VALU_DEP_3)
	v_add_f64_e32 v[62:63], v[84:85], v[62:63]
	v_mul_f64_e32 v[84:85], s[42:43], v[145:146]
	v_add_f64_e32 v[68:69], v[70:71], v[68:69]
	s_delay_alu instid0(VALU_DEP_2) | instskip(SKIP_2) | instid1(VALU_DEP_3)
	v_fma_f64 v[86:87], v[147:148], s[4:5], -v[84:85]
	v_fma_f64 v[70:71], v[147:148], s[4:5], v[84:85]
	v_mul_f64_e32 v[84:85], s[38:39], v[127:128]
	v_add_f64_e32 v[64:65], v[86:87], v[64:65]
	v_mul_f64_e32 v[86:87], s[30:31], v[149:150]
	s_delay_alu instid0(VALU_DEP_4) | instskip(NEXT) | instid1(VALU_DEP_2)
	v_add_f64_e32 v[66:67], v[70:71], v[66:67]
	v_fma_f64 v[88:89], v[151:152], s[28:29], v[86:87]
	v_fma_f64 v[70:71], v[151:152], s[28:29], -v[86:87]
	v_mul_f64_e32 v[86:87], s[38:39], v[129:130]
	s_delay_alu instid0(VALU_DEP_3) | instskip(SKIP_1) | instid1(VALU_DEP_4)
	v_add_f64_e32 v[62:63], v[88:89], v[62:63]
	v_mul_f64_e32 v[88:89], s[30:31], v[153:154]
	v_add_f64_e32 v[68:69], v[70:71], v[68:69]
	s_delay_alu instid0(VALU_DEP_2) | instskip(SKIP_2) | instid1(VALU_DEP_3)
	v_fma_f64 v[70:71], v[155:156], s[28:29], v[88:89]
	v_fma_f64 v[157:158], v[155:156], s[28:29], -v[88:89]
	v_mul_f64_e32 v[88:89], s[30:31], v[133:134]
	v_add_f64_e32 v[66:67], v[70:71], v[66:67]
	v_fma_f64 v[70:71], v[161:162], s[12:13], -v[163:164]
	s_delay_alu instid0(VALU_DEP_3)
	v_fma_f64 v[74:75], v[135:136], s[28:29], v[88:89]
	v_add_f64_e32 v[157:158], v[157:158], v[64:65]
	v_fma_f64 v[64:65], v[161:162], s[12:13], v[163:164]
	v_mul_f64_e32 v[163:164], s[42:43], v[153:154]
	v_add_f64_e32 v[66:67], v[72:73], v[66:67]
	v_add_f64_e32 v[68:69], v[70:71], v[68:69]
	v_fma_f64 v[70:71], v[0:1], s[10:11], v[84:85]
	v_fma_f64 v[72:73], v[131:132], s[10:11], -v[86:87]
	v_add_f64_e32 v[64:65], v[64:65], v[62:63]
	v_fma_f64 v[62:63], v[167:168], s[12:13], -v[169:170]
	v_mul_f64_e32 v[169:170], s[40:41], v[159:160]
	v_add_f64_e32 v[70:71], v[70:71], v[92:93]
	v_add_f64_e32 v[72:73], v[72:73], v[94:95]
	v_mul_f64_e32 v[92:93], s[24:25], v[141:142]
	v_mul_f64_e32 v[94:95], s[24:25], v[145:146]
	v_add_f64_e32 v[62:63], v[62:63], v[157:158]
	v_mul_f64_e32 v[157:158], s[42:43], v[149:150]
	v_add_f64_e32 v[70:71], v[74:75], v[70:71]
	v_fma_f64 v[74:75], v[139:140], s[28:29], -v[90:91]
	s_delay_alu instid0(VALU_DEP_1) | instskip(SKIP_1) | instid1(VALU_DEP_1)
	v_add_f64_e32 v[72:73], v[74:75], v[72:73]
	v_fma_f64 v[74:75], v[143:144], s[14:15], v[92:93]
	v_add_f64_e32 v[70:71], v[74:75], v[70:71]
	v_fma_f64 v[74:75], v[147:148], s[14:15], -v[94:95]
	s_delay_alu instid0(VALU_DEP_1) | instskip(SKIP_1) | instid1(VALU_DEP_1)
	v_add_f64_e32 v[72:73], v[74:75], v[72:73]
	v_fma_f64 v[74:75], v[151:152], s[4:5], v[157:158]
	;; [unrolled: 5-line block ×3, first 2 shown]
	v_add_f64_e32 v[72:73], v[72:73], v[70:71]
	v_fma_f64 v[70:71], v[167:168], s[16:17], -v[171:172]
	s_delay_alu instid0(VALU_DEP_1) | instskip(SKIP_1) | instid1(VALU_DEP_1)
	v_add_f64_e32 v[70:71], v[70:71], v[74:75]
	v_fma_f64 v[74:75], v[0:1], s[12:13], -v[173:174]
	v_add_f64_e32 v[74:75], v[74:75], v[125:126]
	v_mul_f64_e32 v[125:126], s[22:23], v[129:130]
	s_delay_alu instid0(VALU_DEP_1) | instskip(NEXT) | instid1(VALU_DEP_1)
	v_fma_f64 v[76:77], v[131:132], s[12:13], v[125:126]
	v_add_f64_e32 v[76:77], v[76:77], v[82:83]
	v_fma_f64 v[82:83], v[135:136], s[4:5], -v[175:176]
	s_delay_alu instid0(VALU_DEP_1) | instskip(SKIP_1) | instid1(VALU_DEP_1)
	v_add_f64_e32 v[74:75], v[82:83], v[74:75]
	v_fma_f64 v[82:83], v[139:140], s[4:5], v[177:178]
	v_add_f64_e32 v[76:77], v[82:83], v[76:77]
	v_fma_f64 v[82:83], v[143:144], s[10:11], -v[179:180]
	s_delay_alu instid0(VALU_DEP_1) | instskip(SKIP_1) | instid1(VALU_DEP_1)
	v_add_f64_e32 v[74:75], v[82:83], v[74:75]
	;; [unrolled: 5-line block ×9, first 2 shown]
	v_fma_f64 v[78:79], v[167:168], s[10:11], v[209:210]
	v_add_f64_e32 v[78:79], v[78:79], v[82:83]
	v_fma_f64 v[82:83], v[0:1], s[10:11], -v[84:85]
	v_fma_f64 v[84:85], v[131:132], s[10:11], v[86:87]
	v_fma_f64 v[86:87], v[135:136], s[28:29], -v[88:89]
	v_fma_f64 v[88:89], v[167:168], s[16:17], v[171:172]
	s_delay_alu instid0(VALU_DEP_4) | instskip(NEXT) | instid1(VALU_DEP_4)
	v_add_f64_e32 v[82:83], v[82:83], v[110:111]
	v_add_f64_e32 v[84:85], v[84:85], v[112:113]
	v_mul_f64_e32 v[110:111], s[26:27], v[129:130]
	v_mul_f64_e32 v[112:113], s[24:25], v[137:138]
	;; [unrolled: 1-line block ×3, first 2 shown]
	v_add_f64_e32 v[82:83], v[86:87], v[82:83]
	v_fma_f64 v[86:87], v[139:140], s[28:29], v[90:91]
	v_fma_f64 v[90:91], v[135:136], s[12:13], v[195:196]
	s_delay_alu instid0(VALU_DEP_2) | instskip(SKIP_2) | instid1(VALU_DEP_2)
	v_add_f64_e32 v[84:85], v[86:87], v[84:85]
	v_fma_f64 v[86:87], v[143:144], s[14:15], -v[92:93]
	v_fma_f64 v[92:93], v[167:168], s[10:11], -v[209:210]
	v_add_f64_e32 v[82:83], v[86:87], v[82:83]
	v_fma_f64 v[86:87], v[147:148], s[14:15], v[94:95]
	v_fma_f64 v[94:95], v[135:136], s[4:5], v[175:176]
	s_delay_alu instid0(VALU_DEP_2) | instskip(SKIP_1) | instid1(VALU_DEP_1)
	v_add_f64_e32 v[84:85], v[86:87], v[84:85]
	v_fma_f64 v[86:87], v[151:152], s[4:5], -v[157:158]
	v_add_f64_e32 v[82:83], v[86:87], v[82:83]
	v_fma_f64 v[86:87], v[155:156], s[4:5], v[163:164]
	s_delay_alu instid0(VALU_DEP_1) | instskip(SKIP_1) | instid1(VALU_DEP_1)
	v_add_f64_e32 v[86:87], v[86:87], v[84:85]
	v_fma_f64 v[84:85], v[161:162], s[16:17], -v[169:170]
	v_add_f64_e32 v[84:85], v[84:85], v[82:83]
	s_delay_alu instid0(VALU_DEP_3) | instskip(SKIP_2) | instid1(VALU_DEP_2)
	v_add_f64_e32 v[82:83], v[88:89], v[86:87]
	v_fma_f64 v[86:87], v[0:1], s[4:5], v[191:192]
	v_fma_f64 v[88:89], v[131:132], s[4:5], -v[193:194]
	v_add_f64_e32 v[86:87], v[86:87], v[114:115]
	s_delay_alu instid0(VALU_DEP_2) | instskip(SKIP_2) | instid1(VALU_DEP_4)
	v_add_f64_e32 v[88:89], v[88:89], v[96:97]
	v_fma_f64 v[96:97], v[167:168], s[28:29], -v[189:190]
	v_mul_f64_e32 v[114:115], s[22:23], v[141:142]
	v_add_f64_e32 v[86:87], v[90:91], v[86:87]
	v_fma_f64 v[90:91], v[139:140], s[12:13], -v[197:198]
	s_delay_alu instid0(VALU_DEP_3) | instskip(NEXT) | instid1(VALU_DEP_2)
	v_fma_f64 v[12:13], v[143:144], s[12:13], v[114:115]
	v_add_f64_e32 v[88:89], v[90:91], v[88:89]
	v_fma_f64 v[90:91], v[143:144], s[28:29], v[199:200]
	s_delay_alu instid0(VALU_DEP_1) | instskip(SKIP_1) | instid1(VALU_DEP_1)
	v_add_f64_e32 v[86:87], v[90:91], v[86:87]
	v_fma_f64 v[90:91], v[147:148], s[28:29], -v[201:202]
	v_add_f64_e32 v[88:89], v[90:91], v[88:89]
	v_fma_f64 v[90:91], v[151:152], s[16:17], v[203:204]
	s_delay_alu instid0(VALU_DEP_1) | instskip(SKIP_1) | instid1(VALU_DEP_1)
	v_add_f64_e32 v[86:87], v[90:91], v[86:87]
	v_fma_f64 v[90:91], v[155:156], s[16:17], -v[205:206]
	v_add_f64_e32 v[90:91], v[90:91], v[88:89]
	v_fma_f64 v[88:89], v[161:162], s[10:11], v[207:208]
	s_delay_alu instid0(VALU_DEP_1) | instskip(NEXT) | instid1(VALU_DEP_3)
	v_add_f64_e32 v[88:89], v[88:89], v[86:87]
	v_add_f64_e32 v[86:87], v[92:93], v[90:91]
	v_fma_f64 v[90:91], v[0:1], s[12:13], v[173:174]
	v_fma_f64 v[92:93], v[131:132], s[12:13], -v[125:126]
	v_mul_f64_e32 v[125:126], s[20:21], v[149:150]
	s_delay_alu instid0(VALU_DEP_3) | instskip(NEXT) | instid1(VALU_DEP_3)
	v_add_f64_e32 v[90:91], v[90:91], v[122:123]
	v_add_f64_e32 v[92:93], v[92:93], v[98:99]
	v_mul_f64_e32 v[98:99], s[26:27], v[127:128]
	v_mul_f64_e32 v[122:123], s[22:23], v[145:146]
	;; [unrolled: 1-line block ×3, first 2 shown]
	v_add_f64_e32 v[90:91], v[94:95], v[90:91]
	v_fma_f64 v[94:95], v[139:140], s[4:5], -v[177:178]
	s_delay_alu instid0(VALU_DEP_4) | instskip(NEXT) | instid1(VALU_DEP_2)
	v_fma_f64 v[14:15], v[147:148], s[12:13], -v[122:123]
	v_add_f64_e32 v[92:93], v[94:95], v[92:93]
	v_fma_f64 v[94:95], v[143:144], s[10:11], v[179:180]
	s_delay_alu instid0(VALU_DEP_1) | instskip(SKIP_1) | instid1(VALU_DEP_1)
	v_add_f64_e32 v[90:91], v[94:95], v[90:91]
	v_fma_f64 v[94:95], v[147:148], s[10:11], -v[181:182]
	v_add_f64_e32 v[92:93], v[94:95], v[92:93]
	v_fma_f64 v[94:95], v[151:152], s[14:15], v[183:184]
	s_delay_alu instid0(VALU_DEP_1) | instskip(SKIP_1) | instid1(VALU_DEP_1)
	v_add_f64_e32 v[90:91], v[94:95], v[90:91]
	v_fma_f64 v[94:95], v[155:156], s[14:15], -v[185:186]
	v_add_f64_e32 v[94:95], v[94:95], v[92:93]
	v_fma_f64 v[92:93], v[161:162], s[28:29], v[187:188]
	s_delay_alu instid0(VALU_DEP_1) | instskip(NEXT) | instid1(VALU_DEP_3)
	v_add_f64_e32 v[92:93], v[92:93], v[90:91]
	v_add_f64_e32 v[90:91], v[96:97], v[94:95]
	v_fma_f64 v[94:95], v[0:1], s[16:17], -v[98:99]
	v_fma_f64 v[0:1], v[0:1], s[16:17], v[98:99]
	s_delay_alu instid0(VALU_DEP_2) | instskip(SKIP_1) | instid1(VALU_DEP_3)
	v_add_f64_e32 v[2:3], v[94:95], v[2:3]
	v_fma_f64 v[94:95], v[131:132], s[16:17], v[110:111]
	v_add_f64_e32 v[0:1], v[0:1], v[48:49]
	s_delay_alu instid0(VALU_DEP_2) | instskip(SKIP_2) | instid1(VALU_DEP_2)
	v_add_f64_e32 v[94:95], v[94:95], v[108:109]
	v_mul_f64_e32 v[108:109], s[24:25], v[133:134]
	v_mul_f64_e32 v[133:134], s[18:19], v[165:166]
	v_fma_f64 v[96:97], v[135:136], s[14:15], -v[108:109]
	s_delay_alu instid0(VALU_DEP_1) | instskip(SKIP_1) | instid1(VALU_DEP_1)
	v_add_f64_e32 v[2:3], v[96:97], v[2:3]
	v_fma_f64 v[96:97], v[139:140], s[14:15], v[112:113]
	v_add_f64_e32 v[94:95], v[96:97], v[94:95]
	v_fma_f64 v[96:97], v[143:144], s[12:13], -v[114:115]
	s_delay_alu instid0(VALU_DEP_1) | instskip(SKIP_1) | instid1(VALU_DEP_1)
	v_add_f64_e32 v[2:3], v[96:97], v[2:3]
	v_fma_f64 v[96:97], v[147:148], s[12:13], v[122:123]
	v_add_f64_e32 v[94:95], v[96:97], v[94:95]
	v_fma_f64 v[96:97], v[151:152], s[10:11], -v[125:126]
	s_delay_alu instid0(VALU_DEP_1) | instskip(SKIP_1) | instid1(VALU_DEP_1)
	v_add_f64_e32 v[2:3], v[96:97], v[2:3]
	v_fma_f64 v[96:97], v[155:156], s[10:11], v[127:128]
	v_add_f64_e32 v[94:95], v[96:97], v[94:95]
	v_fma_f64 v[96:97], v[161:162], s[4:5], -v[129:130]
	s_delay_alu instid0(VALU_DEP_1) | instskip(SKIP_1) | instid1(VALU_DEP_1)
	v_add_f64_e32 v[96:97], v[96:97], v[2:3]
	v_fma_f64 v[2:3], v[167:168], s[4:5], v[133:134]
	v_add_f64_e32 v[94:95], v[2:3], v[94:95]
	v_add_f64_e32 v[2:3], v[44:45], v[52:53]
	s_delay_alu instid0(VALU_DEP_1) | instskip(NEXT) | instid1(VALU_DEP_1)
	v_add_f64_e32 v[2:3], v[2:3], v[38:39]
	v_add_f64_e32 v[2:3], v[2:3], v[30:31]
	s_delay_alu instid0(VALU_DEP_1) | instskip(NEXT) | instid1(VALU_DEP_1)
	v_add_f64_e32 v[2:3], v[2:3], v[34:35]
	;; [unrolled: 3-line block ×3, first 2 shown]
	v_add_f64_e32 v[2:3], v[2:3], v[28:29]
	s_delay_alu instid0(VALU_DEP_1) | instskip(SKIP_1) | instid1(VALU_DEP_2)
	v_add_f64_e32 v[2:3], v[2:3], v[10:11]
	v_fma_f64 v[10:11], v[139:140], s[14:15], -v[112:113]
	v_add_f64_e32 v[2:3], v[2:3], v[16:17]
	s_delay_alu instid0(VALU_DEP_1) | instskip(NEXT) | instid1(VALU_DEP_1)
	v_add_f64_e32 v[2:3], v[2:3], v[18:19]
	v_add_f64_e32 v[4:5], v[2:3], v[24:25]
	;; [unrolled: 1-line block ×3, first 2 shown]
	v_fma_f64 v[8:9], v[135:136], s[14:15], v[108:109]
	v_fma_f64 v[6:7], v[131:132], s[16:17], -v[110:111]
	s_delay_alu instid0(VALU_DEP_2) | instskip(SKIP_1) | instid1(VALU_DEP_3)
	v_add_f64_e32 v[0:1], v[8:9], v[0:1]
	v_fma_f64 v[8:9], v[151:152], s[10:11], v[125:126]
	v_add_f64_e32 v[6:7], v[6:7], v[50:51]
	s_delay_alu instid0(VALU_DEP_3) | instskip(SKIP_1) | instid1(VALU_DEP_3)
	v_add_f64_e32 v[0:1], v[12:13], v[0:1]
	v_fma_f64 v[12:13], v[161:162], s[4:5], v[129:130]
	v_add_f64_e32 v[6:7], v[10:11], v[6:7]
	v_fma_f64 v[10:11], v[155:156], s[10:11], -v[127:128]
	s_delay_alu instid0(VALU_DEP_4) | instskip(NEXT) | instid1(VALU_DEP_3)
	v_add_f64_e32 v[0:1], v[8:9], v[0:1]
	v_add_f64_e32 v[6:7], v[14:15], v[6:7]
	v_fma_f64 v[14:15], v[167:168], s[4:5], -v[133:134]
	s_delay_alu instid0(VALU_DEP_3) | instskip(SKIP_2) | instid1(VALU_DEP_1)
	v_add_f64_e32 v[8:9], v[12:13], v[0:1]
	scratch_load_b64 v[0:1], off, off       ; 8-byte Folded Reload
	v_add_f64_e32 v[6:7], v[10:11], v[6:7]
	v_add_f64_e32 v[6:7], v[14:15], v[6:7]
	s_wait_loadcnt 0x0
	v_lshrrev_b32_e32 v0, 2, v0
	s_delay_alu instid0(VALU_DEP_1) | instskip(NEXT) | instid1(VALU_DEP_1)
	v_mul_lo_u32 v0, v0, 52
	v_or_b32_e32 v0, v0, v117
	s_delay_alu instid0(VALU_DEP_1)
	v_lshl_add_u32 v0, v0, 4, 0
	ds_store_b128 v0, v[74:77] offset:128
	ds_store_b128 v0, v[78:81] offset:192
	;; [unrolled: 1-line block ×11, first 2 shown]
	ds_store_b128 v0, v[2:5]
	ds_store_b128 v0, v[6:9] offset:768
.LBB0_17:
	s_wait_alu 0xfffe
	s_or_b32 exec_lo, exec_lo, s1
	global_wb scope:SCOPE_SE
	s_wait_dscnt 0x0
	s_barrier_signal -1
	s_barrier_wait -1
	global_inv scope:SCOPE_SE
	s_clause 0x4
	scratch_load_b64 v[137:138], off, off offset:24 th:TH_LOAD_LU
	scratch_load_b64 v[139:140], off, off offset:80 th:TH_LOAD_LU
	;; [unrolled: 1-line block ×5, first 2 shown]
	v_mov_b32_e32 v117, 0
	s_mov_b32 s4, 0xe8584caa
	s_mov_b32 s5, 0xbfebb67a
	;; [unrolled: 1-line block ×3, first 2 shown]
	s_wait_alu 0xfffe
	s_mov_b32 s10, s4
	s_wait_loadcnt 0x4
	v_and_b32_e32 v2, 0xff, v137
	v_lshlrev_b64_e32 v[0:1], 4, v[116:117]
	s_wait_loadcnt 0x3
	v_and_b32_e32 v3, 0xff, v139
	v_lshl_add_u32 v207, v137, 4, 0
	v_lshl_add_u32 v206, v139, 4, 0
	s_wait_loadcnt 0x2
	v_lshl_add_u32 v205, v145, 4, 0
	s_wait_loadcnt 0x1
	v_lshl_add_u32 v204, v167, 4, 0
	v_add_co_u32 v96, s0, s8, v0
	v_mul_lo_u16 v0, 0x4f, v2
	v_and_b32_e32 v2, 0xffff, v145
	s_wait_alu 0xf1ff
	v_add_co_ci_u32_e64 v97, s0, s9, v1, s0
	v_mul_lo_u16 v1, 0x4f, v3
	v_and_b32_e32 v3, 0xffff, v167
	v_lshrrev_b16 v0, 12, v0
	v_mul_u32_u24_e32 v138, 0x4ec5, v2
	s_wait_loadcnt 0x0
	v_and_b32_e32 v2, 0xffff, v194
	v_lshrrev_b16 v1, 12, v1
	v_mul_u32_u24_e32 v100, 0x4ec5, v3
	v_mul_lo_u16 v0, v0, 52
	v_lshrrev_b32_e32 v3, 20, v138
	v_mul_u32_u24_e32 v98, 0x4ec5, v2
	v_mul_lo_u16 v1, v1, 52
	v_lshrrev_b32_e32 v4, 20, v100
	v_sub_nc_u16 v0, v137, v0
	v_mul_lo_u16 v2, v3, 52
	global_load_b128 v[16:19], v[96:97], off offset:800
	v_sub_nc_u16 v1, v139, v1
	v_mul_lo_u16 v3, v4, 52
	v_and_b32_e32 v0, 0xff, v0
	v_sub_nc_u16 v2, v145, v2
	s_delay_alu instid0(VALU_DEP_4) | instskip(NEXT) | instid1(VALU_DEP_4)
	v_dual_mov_b32 v168, v117 :: v_dual_and_b32 v1, 0xff, v1
	v_sub_nc_u16 v3, v167, v3
	s_delay_alu instid0(VALU_DEP_4) | instskip(NEXT) | instid1(VALU_DEP_4)
	v_lshlrev_b32_e32 v101, 4, v0
	v_dual_mov_b32 v195, v117 :: v_dual_and_b32 v0, 0xffff, v2
	s_delay_alu instid0(VALU_DEP_4) | instskip(NEXT) | instid1(VALU_DEP_4)
	v_lshlrev_b32_e32 v114, 4, v1
	v_and_b32_e32 v1, 0xffff, v3
	s_clause 0x1
	global_load_b128 v[20:23], v101, s[8:9] offset:800
	global_load_b128 v[24:27], v114, s[8:9] offset:800
	v_lshlrev_b32_e32 v115, 4, v0
	v_lshlrev_b32_e32 v136, 4, v1
	scratch_load_b64 v[196:197], off, off offset:44 th:TH_LOAD_LU ; 8-byte Folded Reload
	s_wait_loadcnt 0x0
	v_mov_b32_e32 v197, v117
	s_clause 0x1
	global_load_b128 v[28:31], v115, s[8:9] offset:800
	global_load_b128 v[32:35], v136, s[8:9] offset:800
	s_clause 0x2
	scratch_load_b64 v[198:199], off, off offset:52 th:TH_LOAD_LU
	scratch_load_b64 v[202:203], off, off offset:16 th:TH_LOAD_LU
	;; [unrolled: 1-line block ×3, first 2 shown]
	v_lshrrev_b32_e32 v4, 20, v98
	v_and_b32_e32 v1, 0xffff, v124
	s_wait_loadcnt 0x2
	v_mov_b32_e32 v199, v117
	s_wait_loadcnt 0x1
	v_mov_b32_e32 v203, v117
	v_lshrrev_b32_e32 v100, 21, v100
	v_mul_lo_u16 v4, v4, 52
	v_mul_u32_u24_e32 v99, 0x4ec5, v1
	s_wait_loadcnt 0x0
	v_mov_b32_e32 v201, v117
	s_delay_alu instid0(VALU_DEP_3) | instskip(NEXT) | instid1(VALU_DEP_3)
	v_sub_nc_u16 v2, v194, v4
	v_lshrrev_b32_e32 v4, 20, v99
	s_delay_alu instid0(VALU_DEP_2) | instskip(NEXT) | instid1(VALU_DEP_2)
	v_and_b32_e32 v0, 0xffff, v2
	v_mul_lo_u16 v4, v4, 52
	s_delay_alu instid0(VALU_DEP_2) | instskip(NEXT) | instid1(VALU_DEP_2)
	v_lshlrev_b32_e32 v140, 4, v0
	v_sub_nc_u16 v4, v124, v4
	global_load_b128 v[36:39], v140, s[8:9] offset:800
	v_and_b32_e32 v4, 0xffff, v4
	s_delay_alu instid0(VALU_DEP_1) | instskip(SKIP_3) | instid1(VALU_DEP_2)
	v_lshlrev_b32_e32 v146, 4, v4
	global_load_b128 v[40:43], v146, s[8:9] offset:800
	v_and_b32_e32 v2, 0xffff, v196
	v_and_b32_e32 v0, 0xffff, v198
	v_mul_u32_u24_e32 v1, 0x4ec5, v2
	v_and_b32_e32 v2, 0xffff, v200
	v_and_b32_e32 v3, 0xffff, v202
	s_delay_alu instid0(VALU_DEP_4) | instskip(NEXT) | instid1(VALU_DEP_4)
	v_mul_u32_u24_e32 v0, 0x4ec5, v0
	v_lshrrev_b32_e32 v1, 20, v1
	s_delay_alu instid0(VALU_DEP_4) | instskip(NEXT) | instid1(VALU_DEP_4)
	v_mul_u32_u24_e32 v2, 0x4ec5, v2
	v_mul_u32_u24_e32 v3, 0x4ec5, v3
	s_delay_alu instid0(VALU_DEP_4) | instskip(NEXT) | instid1(VALU_DEP_4)
	v_lshrrev_b32_e32 v0, 20, v0
	v_mul_lo_u16 v1, v1, 52
	s_delay_alu instid0(VALU_DEP_4) | instskip(NEXT) | instid1(VALU_DEP_4)
	v_lshrrev_b32_e32 v2, 20, v2
	v_lshrrev_b32_e32 v3, 20, v3
	s_delay_alu instid0(VALU_DEP_4) | instskip(NEXT) | instid1(VALU_DEP_4)
	v_mul_lo_u16 v0, v0, 52
	v_sub_nc_u16 v1, v196, v1
	s_delay_alu instid0(VALU_DEP_4) | instskip(NEXT) | instid1(VALU_DEP_4)
	v_mul_lo_u16 v2, v2, 52
	v_mul_lo_u16 v3, v3, 52
	s_delay_alu instid0(VALU_DEP_4) | instskip(NEXT) | instid1(VALU_DEP_4)
	v_sub_nc_u16 v0, v198, v0
	v_and_b32_e32 v1, 0xffff, v1
	s_delay_alu instid0(VALU_DEP_4) | instskip(NEXT) | instid1(VALU_DEP_4)
	v_sub_nc_u16 v2, v200, v2
	v_sub_nc_u16 v3, v202, v3
	s_delay_alu instid0(VALU_DEP_4) | instskip(NEXT) | instid1(VALU_DEP_4)
	v_and_b32_e32 v0, 0xffff, v0
	v_lshlrev_b32_e32 v147, 4, v1
	s_delay_alu instid0(VALU_DEP_4) | instskip(NEXT) | instid1(VALU_DEP_4)
	v_and_b32_e32 v1, 0xffff, v2
	v_and_b32_e32 v2, 0xffff, v3
	s_delay_alu instid0(VALU_DEP_4)
	v_lshlrev_b32_e32 v148, 4, v0
	global_load_b128 v[44:47], v147, s[8:9] offset:800
	v_lshlrev_b32_e32 v149, 4, v1
	v_lshlrev_b32_e32 v150, 4, v2
	s_clause 0x2
	global_load_b128 v[48:51], v148, s[8:9] offset:800
	global_load_b128 v[52:55], v149, s[8:9] offset:800
	global_load_b128 v[56:59], v150, s[8:9] offset:800
	ds_load_b128 v[60:63], v239 offset:9984
	ds_load_b128 v[64:67], v239 offset:10816
	;; [unrolled: 1-line block ×12, first 2 shown]
	scratch_load_b64 v[0:1], off, off th:TH_LOAD_LU ; 8-byte Folded Reload
	ds_load_b128 v[12:15], v239
	ds_load_b128 v[4:7], v207
	s_wait_dscnt 0xd
	v_mul_f64_e32 v[112:113], v[62:63], v[18:19]
	v_mul_f64_e32 v[122:123], v[60:61], v[18:19]
	s_wait_dscnt 0xc
	v_mul_f64_e32 v[133:134], v[66:67], v[18:19]
	v_mul_f64_e32 v[18:19], v[64:65], v[18:19]
	;; [unrolled: 3-line block ×5, first 2 shown]
	s_wait_loadcnt_dscnt 0x607
	v_mul_f64_e32 v[155:156], v[86:87], v[38:39]
	v_mul_f64_e32 v[38:39], v[84:85], v[38:39]
	s_wait_loadcnt_dscnt 0x506
	v_mul_f64_e32 v[157:158], v[90:91], v[42:43]
	v_mul_f64_e32 v[42:43], v[88:89], v[42:43]
	v_mul_f64_e32 v[141:142], v[70:71], v[22:23]
	v_mul_f64_e32 v[22:23], v[68:69], v[22:23]
	v_fma_f64 v[60:61], v[60:61], v[16:17], v[112:113]
	v_fma_f64 v[62:63], v[62:63], v[16:17], -v[122:123]
	v_fma_f64 v[64:65], v[64:65], v[16:17], v[133:134]
	v_fma_f64 v[66:67], v[66:67], v[16:17], -v[18:19]
	scratch_load_b32 v16, off, off offset:112 th:TH_LOAD_LU ; 4-byte Folded Reload
	v_fma_f64 v[72:73], v[72:73], v[24:25], v[143:144]
	v_fma_f64 v[74:75], v[74:75], v[24:25], -v[26:27]
	v_fma_f64 v[76:77], v[76:77], v[28:29], v[151:152]
	v_fma_f64 v[78:79], v[78:79], v[28:29], -v[30:31]
	;; [unrolled: 2-line block ×5, first 2 shown]
	ds_load_b128 v[32:35], v205
	ds_load_b128 v[24:27], v204
	v_fma_f64 v[68:69], v[68:69], v[20:21], v[141:142]
	v_fma_f64 v[70:71], v[70:71], v[20:21], -v[22:23]
	s_wait_dscnt 0x3
	v_add_f64_e64 v[18:19], v[14:15], -v[62:63]
	s_delay_alu instid0(VALU_DEP_1)
	v_fma_f64 v[14:15], v[14:15], 2.0, -v[18:19]
	s_wait_loadcnt 0x5
	v_mul_f64_e32 v[159:160], v[94:95], v[46:47]
	v_mul_f64_e32 v[46:47], v[92:93], v[46:47]
	s_wait_loadcnt 0x4
	v_mul_f64_e32 v[161:162], v[110:111], v[50:51]
	v_mul_f64_e32 v[50:51], v[108:109], v[50:51]
	;; [unrolled: 3-line block ×4, first 2 shown]
	s_wait_loadcnt 0x1
	v_mov_b32_e32 v135, v0
	ds_load_b128 v[0:3], v206
	v_lshl_add_u32 v208, v135, 4, 0
	ds_load_b128 v[8:11], v208
	s_wait_dscnt 0x1
	v_add_f64_e64 v[62:63], v[2:3], -v[74:75]
	v_fma_f64 v[92:93], v[92:93], v[44:45], v[159:160]
	v_fma_f64 v[94:95], v[94:95], v[44:45], -v[46:47]
	s_wait_dscnt 0x0
	v_add_f64_e64 v[20:21], v[8:9], -v[64:65]
	v_fma_f64 v[122:123], v[108:109], v[48:49], v[161:162]
	v_fma_f64 v[133:134], v[110:111], v[48:49], -v[50:51]
	v_fma_f64 v[125:126], v[125:126], v[52:53], v[163:164]
	v_fma_f64 v[127:128], v[127:128], v[52:53], -v[54:55]
	;; [unrolled: 2-line block ×3, first 2 shown]
	v_add_f64_e64 v[22:23], v[10:11], -v[66:67]
	v_add_f64_e64 v[48:49], v[4:5], -v[68:69]
	;; [unrolled: 1-line block ×5, first 2 shown]
	s_wait_loadcnt 0x0
	v_add_nc_u32_e32 v113, v16, v103
	v_lshl_add_u32 v16, v124, 5, 0
	ds_load_b128 v[52:55], v113
	v_add_nc_u32_e32 v112, v16, v104
	scratch_load_b32 v16, off, off offset:116 th:TH_LOAD_LU ; 4-byte Folded Reload
	v_add_f64_e64 v[68:69], v[24:25], -v[80:81]
	v_add_f64_e64 v[70:71], v[26:27], -v[82:83]
	v_fma_f64 v[2:3], v[2:3], 2.0, -v[62:63]
	v_fma_f64 v[8:9], v[8:9], 2.0, -v[20:21]
	s_wait_dscnt 0x0
	v_add_f64_e64 v[74:75], v[54:55], -v[86:87]
	v_fma_f64 v[10:11], v[10:11], 2.0, -v[22:23]
	v_fma_f64 v[4:5], v[4:5], 2.0, -v[48:49]
	;; [unrolled: 1-line block ×8, first 2 shown]
	s_wait_loadcnt 0x0
	v_add_nc_u32_e32 v111, v16, v105
	scratch_load_b32 v16, off, off offset:120 th:TH_LOAD_LU ; 4-byte Folded Reload
	s_wait_loadcnt 0x0
	v_add_nc_u32_e32 v110, v16, v106
	scratch_load_b32 v16, off, off offset:124 th:TH_LOAD_LU ; 4-byte Folded Reload
	v_lshrrev_b32_e32 v106, 21, v138
	v_mov_b32_e32 v138, v117
	s_delay_alu instid0(VALU_DEP_2)
	v_mul_lo_u16 v106, 0x68, v106
	s_wait_loadcnt 0x0
	v_add_nc_u32_e32 v109, v16, v107
	scratch_load_b32 v16, off, off offset:128 th:TH_LOAD_LU ; 4-byte Folded Reload
	v_add_nc_u32_e32 v107, 0, v114
	v_add_nc_u32_e32 v114, 0, v115
	v_dual_mov_b32 v136, v117 :: v_dual_add_nc_u32 v115, 0, v136
	s_wait_loadcnt 0x0
	v_add_nc_u32_e32 v108, v16, v102
	ds_load_b128 v[56:59], v112
	ds_load_b128 v[44:47], v111
	;; [unrolled: 1-line block ×5, first 2 shown]
	s_clause 0x1
	scratch_load_b64 v[102:103], off, off offset:104 th:TH_LOAD_LU
	scratch_load_b64 v[104:105], off, off offset:132 th:TH_LOAD_LU
	v_add_f64_e64 v[16:17], v[12:13], -v[60:61]
	v_add_f64_e64 v[60:61], v[0:1], -v[72:73]
	;; [unrolled: 1-line block ×3, first 2 shown]
	s_wait_loadcnt 0x1
	v_mov_b32_e32 v103, v117
	s_wait_loadcnt 0x0
	v_mov_b32_e32 v105, v117
	global_wb scope:SCOPE_SE
	s_wait_dscnt 0x0
	s_barrier_signal -1
	s_barrier_wait -1
	global_inv scope:SCOPE_SE
	v_add_f64_e64 v[76:77], v[56:57], -v[88:89]
	v_add_f64_e64 v[78:79], v[58:59], -v[90:91]
	;; [unrolled: 1-line block ×10, first 2 shown]
	v_dual_mov_b32 v146, v117 :: v_dual_add_nc_u32 v123, 0, v146
	v_add_nc_u32_e32 v101, 0, v101
	v_add_nc_u32_e32 v122, 0, v140
	;; [unrolled: 1-line block ×6, first 2 shown]
	v_mov_b32_e32 v140, v117
	v_fma_f64 v[12:13], v[12:13], 2.0, -v[16:17]
	v_fma_f64 v[0:1], v[0:1], 2.0, -v[60:61]
	;; [unrolled: 1-line block ×13, first 2 shown]
	ds_store_b128 v239, v[12:15]
	ds_store_b128 v239, v[16:19] offset:832
	ds_store_b128 v239, v[8:11] offset:1664
	;; [unrolled: 1-line block ×23, first 2 shown]
	v_lshrrev_b32_e32 v16, 21, v98
	v_mul_lo_u16 v17, 0x68, v100
	v_sub_nc_u16 v18, v145, v106
	v_lshrrev_b32_e32 v19, 21, v99
	global_wb scope:SCOPE_SE
	s_wait_dscnt 0x0
	s_barrier_signal -1
	s_barrier_wait -1
	global_inv scope:SCOPE_SE
	v_mul_lo_u16 v16, 0x68, v16
	v_sub_nc_u16 v17, v167, v17
	v_and_b32_e32 v48, 0xffff, v18
	v_mul_lo_u16 v18, 0x68, v19
	v_lshlrev_b64_e32 v[72:73], 4, v[135:136]
	v_sub_nc_u16 v16, v194, v16
	v_and_b32_e32 v49, 0xffff, v17
	v_lshlrev_b32_e32 v17, 5, v48
	v_sub_nc_u16 v18, v124, v18
	v_lshlrev_b64_e32 v[106:107], 4, v[139:140]
	v_and_b32_e32 v50, 0xffff, v16
	v_lshlrev_b32_e32 v16, 5, v49
	v_lshlrev_b64_e32 v[114:115], 4, v[145:146]
	v_and_b32_e32 v51, 0xffff, v18
	v_lshlrev_b64_e32 v[122:123], 4, v[167:168]
	v_lshl_add_u32 v48, v48, 4, 0
	v_lshl_add_u32 v49, v49, 4, 0
	s_delay_alu instid0(VALU_DEP_4) | instskip(SKIP_3) | instid1(VALU_DEP_2)
	v_lshlrev_b32_e32 v40, 5, v51
	v_lshl_add_u32 v51, v51, 4, 0
	v_lshlrev_b64_e32 v[102:103], 4, v[102:103]
	v_lshlrev_b64_e32 v[104:105], 4, v[104:105]
	v_add_co_u32 v102, s0, s8, v102
	s_wait_alu 0xf1ff
	s_delay_alu instid0(VALU_DEP_3) | instskip(NEXT) | instid1(VALU_DEP_3)
	v_add_co_ci_u32_e64 v103, s0, s9, v103, s0
	v_add_co_u32 v12, s0, s8, v104
	s_wait_alu 0xf1ff
	v_add_co_ci_u32_e64 v13, s0, s9, v105, s0
	s_clause 0x5
	global_load_b128 v[0:3], v[102:103], off offset:1648
	global_load_b128 v[4:7], v[102:103], off offset:1632
	;; [unrolled: 1-line block ×4, first 2 shown]
	global_load_b128 v[32:35], v17, s[8:9] offset:1632
	global_load_b128 v[20:23], v17, s[8:9] offset:1648
	v_lshlrev_b32_e32 v17, 5, v50
	s_clause 0x5
	global_load_b128 v[36:39], v16, s[8:9] offset:1632
	global_load_b128 v[24:27], v16, s[8:9] offset:1648
	global_load_b128 v[28:31], v17, s[8:9] offset:1632
	global_load_b128 v[16:19], v17, s[8:9] offset:1648
	global_load_b128 v[44:47], v40, s[8:9] offset:1632
	global_load_b128 v[40:43], v40, s[8:9] offset:1648
	ds_load_b128 v[52:55], v111
	ds_load_b128 v[56:59], v239 offset:13312
	ds_load_b128 v[60:63], v239
	ds_load_b128 v[64:67], v239 offset:7488
	ds_load_b128 v[68:71], v239 offset:14144
	v_add_co_u32 v104, s0, s8, v72
	s_wait_alu 0xf1ff
	v_add_co_ci_u32_e64 v105, s0, s9, v73, s0
	ds_load_b128 v[72:75], v239 offset:8320
	ds_load_b128 v[76:79], v239 offset:9152
	;; [unrolled: 1-line block ×6, first 2 shown]
	ds_load_b128 v[98:101], v112
	v_lshlrev_b64_e32 v[102:103], 4, v[137:138]
	ds_load_b128 v[125:128], v239 offset:16640
	ds_load_b128 v[129:132], v239 offset:17472
	;; [unrolled: 1-line block ×6, first 2 shown]
	v_lshl_add_u32 v50, v50, 4, 0
	v_add_co_u32 v102, s0, s8, v102
	s_wait_alu 0xf1ff
	v_add_co_ci_u32_e64 v103, s0, s9, v103, s0
	v_add_co_u32 v106, s0, s8, v106
	s_wait_alu 0xf1ff
	v_add_co_ci_u32_e64 v107, s0, s9, v107, s0
	s_wait_loadcnt_dscnt 0xb10
	v_mul_f64_e32 v[154:155], v[58:59], v[2:3]
	s_wait_loadcnt 0xa
	v_mul_f64_e32 v[141:142], v[54:55], v[6:7]
	v_mul_f64_e32 v[152:153], v[52:53], v[6:7]
	;; [unrolled: 1-line block ×3, first 2 shown]
	s_wait_loadcnt_dscnt 0x80e
	v_mul_f64_e32 v[158:159], v[66:67], v[14:15]
	v_mul_f64_e32 v[160:161], v[64:65], v[14:15]
	s_wait_dscnt 0xd
	v_mul_f64_e32 v[162:163], v[70:71], v[10:11]
	v_mul_f64_e32 v[164:165], v[68:69], v[10:11]
	s_wait_dscnt 0xc
	;; [unrolled: 3-line block ×3, first 2 shown]
	v_mul_f64_e32 v[168:169], v[82:83], v[2:3]
	v_mul_f64_e32 v[2:3], v[80:81], v[2:3]
	;; [unrolled: 1-line block ×4, first 2 shown]
	s_wait_dscnt 0x9
	v_mul_f64_e32 v[172:173], v[86:87], v[10:11]
	v_mul_f64_e32 v[10:11], v[84:85], v[10:11]
	s_wait_loadcnt_dscnt 0x708
	v_mul_f64_e32 v[174:175], v[90:91], v[34:35]
	v_mul_f64_e32 v[34:35], v[88:89], v[34:35]
	s_wait_loadcnt_dscnt 0x605
	v_mul_f64_e32 v[176:177], v[127:128], v[22:23]
	v_mul_f64_e32 v[22:23], v[125:126], v[22:23]
	s_wait_loadcnt 0x5
	v_mul_f64_e32 v[178:179], v[94:95], v[38:39]
	v_mul_f64_e32 v[38:39], v[92:93], v[38:39]
	s_wait_loadcnt_dscnt 0x404
	v_mul_f64_e32 v[180:181], v[131:132], v[26:27]
	v_mul_f64_e32 v[26:27], v[129:130], v[26:27]
	s_wait_loadcnt_dscnt 0x303
	;; [unrolled: 3-line block ×3, first 2 shown]
	v_mul_f64_e32 v[184:185], v[146:147], v[18:19]
	v_mul_f64_e32 v[18:19], v[144:145], v[18:19]
	s_wait_loadcnt 0x1
	v_mul_f64_e32 v[186:187], v[139:140], v[46:47]
	v_mul_f64_e32 v[46:47], v[137:138], v[46:47]
	s_wait_loadcnt_dscnt 0x0
	v_mul_f64_e32 v[188:189], v[150:151], v[42:43]
	v_mul_f64_e32 v[42:43], v[148:149], v[42:43]
	v_fma_f64 v[154:155], v[56:57], v[0:1], v[154:155]
	v_fma_f64 v[141:142], v[52:53], v[4:5], v[141:142]
	v_fma_f64 v[152:153], v[54:55], v[4:5], -v[152:153]
	v_fma_f64 v[156:157], v[58:59], v[0:1], -v[156:157]
	v_fma_f64 v[64:65], v[64:65], v[12:13], v[158:159]
	v_fma_f64 v[66:67], v[66:67], v[12:13], -v[160:161]
	v_fma_f64 v[68:69], v[68:69], v[8:9], v[162:163]
	;; [unrolled: 2-line block ×14, first 2 shown]
	v_fma_f64 v[40:41], v[150:151], v[40:41], -v[42:43]
	ds_load_b128 v[52:55], v208
	ds_load_b128 v[56:59], v207
	;; [unrolled: 1-line block ×6, first 2 shown]
	global_wb scope:SCOPE_SE
	s_wait_dscnt 0x0
	s_barrier_signal -1
	s_barrier_wait -1
	global_inv scope:SCOPE_SE
	v_add_f64_e32 v[46:47], v[141:142], v[154:155]
	v_add_f64_e32 v[42:43], v[60:61], v[141:142]
	;; [unrolled: 1-line block ×3, first 2 shown]
	v_add_f64_e64 v[127:128], v[141:142], -v[154:155]
	v_add_f64_e32 v[94:95], v[62:63], v[152:153]
	v_add_f64_e32 v[131:132], v[64:65], v[68:69]
	v_add_f64_e64 v[133:134], v[66:67], -v[70:71]
	v_add_f64_e64 v[92:93], v[152:153], -v[156:157]
	v_add_f64_e32 v[137:138], v[72:73], v[80:81]
	v_add_f64_e32 v[141:142], v[74:75], v[82:83]
	v_add_f64_e64 v[143:144], v[74:75], -v[82:83]
	v_add_f64_e32 v[135:136], v[54:55], v[66:67]
	v_add_f64_e32 v[66:67], v[66:67], v[70:71]
	;; [unrolled: 1-line block ×11, first 2 shown]
	v_add_f64_e64 v[172:173], v[32:33], -v[20:21]
	v_add_f64_e32 v[32:33], v[6:7], v[32:33]
	v_add_f64_e32 v[166:167], v[26:27], v[30:31]
	v_add_f64_e32 v[170:171], v[28:29], v[90:91]
	v_add_f64_e32 v[178:179], v[8:9], v[22:23]
	v_add_f64_e64 v[64:65], v[64:65], -v[68:69]
	v_add_f64_e32 v[174:175], v[16:17], v[44:45]
	v_add_f64_e32 v[176:177], v[18:19], v[40:41]
	;; [unrolled: 1-line block ×7, first 2 shown]
	v_add_f64_e64 v[72:73], v[72:73], -v[80:81]
	v_add_f64_e32 v[151:152], v[0:1], v[76:77]
	v_fma_f64 v[46:47], v[46:47], -0.5, v[60:61]
	v_add_f64_e64 v[160:161], v[78:79], -v[86:87]
	v_fma_f64 v[60:61], v[125:126], -0.5, v[62:63]
	v_add_f64_e32 v[78:79], v[2:3], v[78:79]
	v_add_f64_e64 v[76:77], v[76:77], -v[84:85]
	v_fma_f64 v[52:53], v[131:132], -0.5, v[52:53]
	v_add_f64_e64 v[88:89], v[88:89], -v[34:35]
	v_add_f64_e64 v[190:191], v[36:37], -v[24:25]
	;; [unrolled: 1-line block ×3, first 2 shown]
	v_fma_f64 v[56:57], v[137:138], -0.5, v[56:57]
	v_fma_f64 v[58:59], v[141:142], -0.5, v[58:59]
	v_add_f64_e32 v[184:185], v[14:15], v[28:29]
	v_add_f64_e64 v[131:132], v[28:29], -v[90:91]
	v_fma_f64 v[54:55], v[66:67], -0.5, v[54:55]
	v_fma_f64 v[62:63], v[145:146], -0.5, v[0:1]
	;; [unrolled: 1-line block ×3, first 2 shown]
	v_add_f64_e32 v[2:3], v[94:95], v[156:157]
	v_fma_f64 v[94:95], v[149:150], -0.5, v[4:5]
	v_add_f64_e32 v[4:5], v[129:130], v[68:69]
	v_fma_f64 v[129:130], v[158:159], -0.5, v[6:7]
	;; [unrolled: 2-line block ×4, first 2 shown]
	v_add_f64_e64 v[192:193], v[26:27], -v[30:31]
	v_fma_f64 v[145:146], v[166:167], -0.5, v[12:13]
	v_fma_f64 v[147:148], v[170:171], -0.5, v[14:15]
	v_add_f64_e64 v[137:138], v[18:19], -v[40:41]
	v_add_f64_e64 v[141:142], v[16:17], -v[44:45]
	v_fma_f64 v[98:99], v[174:175], -0.5, v[98:99]
	v_fma_f64 v[100:101], v[176:177], -0.5, v[100:101]
	v_add_f64_e32 v[0:1], v[42:43], v[154:155]
	v_add_f64_e32 v[16:17], v[168:169], v[34:35]
	;; [unrolled: 1-line block ×7, first 2 shown]
	v_fma_f64 v[32:33], v[92:93], s[4:5], v[46:47]
	s_wait_alu 0xfffe
	v_fma_f64 v[36:37], v[92:93], s[10:11], v[46:47]
	v_fma_f64 v[34:35], v[127:128], s[10:11], v[60:61]
	;; [unrolled: 1-line block ×3, first 2 shown]
	v_add_f64_e32 v[28:29], v[186:187], v[44:45]
	v_fma_f64 v[40:41], v[133:134], s[4:5], v[52:53]
	v_fma_f64 v[44:45], v[133:134], s[10:11], v[52:53]
	v_add_f64_e32 v[10:11], v[74:75], v[82:83]
	v_add_f64_e32 v[12:13], v[151:152], v[84:85]
	v_fma_f64 v[52:53], v[143:144], s[4:5], v[56:57]
	v_fma_f64 v[56:57], v[143:144], s[10:11], v[56:57]
	v_add_f64_e32 v[14:15], v[78:79], v[86:87]
	v_add_f64_e32 v[26:27], v[184:185], v[90:91]
	v_fma_f64 v[42:43], v[64:65], s[10:11], v[54:55]
	v_fma_f64 v[46:47], v[64:65], s[4:5], v[54:55]
	;; [unrolled: 1-line block ×24, first 2 shown]
	v_add_co_u32 v100, s0, s8, v114
	s_wait_alu 0xf1ff
	v_add_co_ci_u32_e64 v101, s0, s9, v115, s0
	ds_store_b128 v239, v[0:3]
	ds_store_b128 v239, v[32:35] offset:1664
	ds_store_b128 v239, v[36:39] offset:3328
	ds_store_b128 v208, v[4:7]
	ds_store_b128 v208, v[40:43] offset:1664
	ds_store_b128 v208, v[44:47] offset:3328
	;; [unrolled: 1-line block ×20, first 2 shown]
	global_wb scope:SCOPE_SE
	s_wait_dscnt 0x0
	s_barrier_signal -1
	s_barrier_wait -1
	global_inv scope:SCOPE_SE
	s_clause 0x2
	global_load_b128 v[8:11], v[96:97], off offset:4960
	global_load_b128 v[12:15], v[104:105], off offset:4960
	;; [unrolled: 1-line block ×3, first 2 shown]
	v_add_co_u32 v98, s0, s8, v122
	s_wait_alu 0xf1ff
	v_add_co_ci_u32_e64 v99, s0, s9, v123, s0
	s_clause 0x2
	global_load_b128 v[20:23], v[106:107], off offset:4960
	global_load_b128 v[24:27], v[100:101], off offset:4960
	;; [unrolled: 1-line block ×3, first 2 shown]
	ds_load_b128 v[32:35], v239 offset:9984
	ds_load_b128 v[36:39], v239 offset:10816
	;; [unrolled: 1-line block ×12, first 2 shown]
	ds_load_b128 v[4:7], v239
	ds_load_b128 v[0:3], v208
	s_wait_loadcnt_dscnt 0x50d
	v_mul_f64_e32 v[80:81], v[34:35], v[10:11]
	v_mul_f64_e32 v[82:83], v[32:33], v[10:11]
	s_wait_loadcnt_dscnt 0x40c
	v_mul_f64_e32 v[84:85], v[38:39], v[14:15]
	v_mul_f64_e32 v[86:87], v[36:37], v[14:15]
	;; [unrolled: 3-line block ×6, first 2 shown]
	s_wait_dscnt 0x7
	v_mul_f64_e32 v[129:130], v[58:59], v[10:11]
	v_mul_f64_e32 v[10:11], v[56:57], v[10:11]
	s_wait_dscnt 0x6
	v_mul_f64_e32 v[131:132], v[62:63], v[14:15]
	v_mul_f64_e32 v[14:15], v[60:61], v[14:15]
	s_wait_dscnt 0x5
	v_mul_f64_e32 v[133:134], v[66:67], v[18:19]
	v_mul_f64_e32 v[18:19], v[64:65], v[18:19]
	s_wait_dscnt 0x4
	v_mul_f64_e32 v[135:136], v[70:71], v[22:23]
	v_mul_f64_e32 v[22:23], v[68:69], v[22:23]
	s_wait_dscnt 0x3
	v_mul_f64_e32 v[137:138], v[74:75], v[26:27]
	v_mul_f64_e32 v[26:27], v[72:73], v[26:27]
	s_wait_dscnt 0x2
	v_mul_f64_e32 v[139:140], v[78:79], v[30:31]
	v_mul_f64_e32 v[30:31], v[76:77], v[30:31]
	v_fma_f64 v[80:81], v[32:33], v[8:9], v[80:81]
	v_fma_f64 v[82:83], v[34:35], v[8:9], -v[82:83]
	v_fma_f64 v[84:85], v[36:37], v[12:13], v[84:85]
	v_fma_f64 v[86:87], v[38:39], v[12:13], -v[86:87]
	;; [unrolled: 2-line block ×11, first 2 shown]
	v_fma_f64 v[139:140], v[76:77], v[28:29], v[139:140]
	ds_load_b128 v[48:51], v207
	v_fma_f64 v[151:152], v[78:79], v[28:29], -v[30:31]
	ds_load_b128 v[52:55], v206
	ds_load_b128 v[44:47], v205
	;; [unrolled: 1-line block ×9, first 2 shown]
	global_wb scope:SCOPE_SE
	s_wait_dscnt 0x0
	s_barrier_signal -1
	s_barrier_wait -1
	global_inv scope:SCOPE_SE
	v_add_f64_e64 v[8:9], v[4:5], -v[80:81]
	v_add_f64_e64 v[10:11], v[6:7], -v[82:83]
	;; [unrolled: 1-line block ×24, first 2 shown]
	v_mov_b32_e32 v125, v117
	v_lshlrev_b64_e32 v[114:115], 4, v[194:195]
	v_lshlrev_b64_e32 v[132:133], 4, v[196:197]
	;; [unrolled: 1-line block ×6, first 2 shown]
	v_fma_f64 v[4:5], v[4:5], 2.0, -v[8:9]
	v_fma_f64 v[6:7], v[6:7], 2.0, -v[10:11]
	;; [unrolled: 1-line block ×24, first 2 shown]
	v_add_co_u32 v22, s0, s8, v114
	ds_store_b128 v239, v[4:7]
	ds_store_b128 v239, v[8:11] offset:4992
	ds_store_b128 v208, v[0:3]
	ds_store_b128 v208, v[12:15] offset:4992
	;; [unrolled: 2-line block ×6, first 2 shown]
	ds_store_b128 v239, v[36:39] offset:9984
	ds_store_b128 v239, v[72:75] offset:14976
	;; [unrolled: 1-line block ×12, first 2 shown]
	global_wb scope:SCOPE_SE
	s_wait_dscnt 0x0
	s_barrier_signal -1
	s_barrier_wait -1
	global_inv scope:SCOPE_SE
	global_load_b128 v[0:3], v[96:97], off offset:9952
	s_wait_alu 0xf1ff
	v_add_co_ci_u32_e64 v23, s0, s9, v115, s0
	v_add_co_u32 v20, s0, s8, v130
	s_wait_alu 0xf1ff
	v_add_co_ci_u32_e64 v21, s0, s9, v131, s0
	s_clause 0x3
	global_load_b128 v[4:7], v[104:105], off offset:9952
	global_load_b128 v[8:11], v[102:103], off offset:9952
	;; [unrolled: 1-line block ×4, first 2 shown]
	v_add_co_u32 v18, s0, s8, v132
	s_wait_alu 0xf1ff
	v_add_co_ci_u32_e64 v19, s0, s9, v133, s0
	v_add_co_u32 v16, s0, s8, v134
	s_wait_alu 0xf1ff
	v_add_co_ci_u32_e64 v17, s0, s9, v135, s0
	v_add_co_u32 v14, s0, s8, v136
	s_clause 0x3
	global_load_b128 v[32:35], v[98:99], off offset:9952
	global_load_b128 v[36:39], v[22:23], off offset:9952
	;; [unrolled: 1-line block ×4, first 2 shown]
	s_wait_alu 0xf1ff
	v_add_co_ci_u32_e64 v15, s0, s9, v137, s0
	v_add_co_u32 v12, s0, s8, v138
	s_wait_alu 0xf1ff
	v_add_co_ci_u32_e64 v13, s0, s9, v139, s0
	s_clause 0x2
	global_load_b128 v[48:51], v[16:17], off offset:9952
	global_load_b128 v[52:55], v[14:15], off offset:9952
	;; [unrolled: 1-line block ×3, first 2 shown]
	ds_load_b128 v[60:63], v239 offset:9984
	ds_load_b128 v[64:67], v239 offset:10816
	;; [unrolled: 1-line block ×12, first 2 shown]
	ds_load_b128 v[134:137], v239
	ds_load_b128 v[138:141], v208
	v_cmp_ne_u32_e64 s0, 0, v116
	s_wait_loadcnt_dscnt 0xb0d
	v_mul_f64_e32 v[114:115], v[62:63], v[2:3]
	v_mul_f64_e32 v[2:3], v[60:61], v[2:3]
	s_wait_loadcnt_dscnt 0xa0c
	v_mul_f64_e32 v[142:143], v[66:67], v[6:7]
	v_mul_f64_e32 v[6:7], v[64:65], v[6:7]
	;; [unrolled: 3-line block ×12, first 2 shown]
	v_fma_f64 v[60:61], v[60:61], v[0:1], v[114:115]
	v_fma_f64 v[62:63], v[62:63], v[0:1], -v[2:3]
	ds_load_b128 v[0:3], v207
	v_fma_f64 v[64:65], v[64:65], v[4:5], v[142:143]
	v_fma_f64 v[66:67], v[66:67], v[4:5], -v[6:7]
	v_fma_f64 v[68:69], v[68:69], v[8:9], v[144:145]
	v_fma_f64 v[70:71], v[70:71], v[8:9], -v[10:11]
	;; [unrolled: 2-line block ×11, first 2 shown]
	ds_load_b128 v[4:7], v206
	ds_load_b128 v[8:11], v205
	;; [unrolled: 1-line block ×9, first 2 shown]
	global_wb scope:SCOPE_SE
	s_wait_dscnt 0x0
	s_barrier_signal -1
	s_barrier_wait -1
	global_inv scope:SCOPE_SE
	v_add_f64_e64 v[52:53], v[134:135], -v[60:61]
	v_add_f64_e64 v[54:55], v[136:137], -v[62:63]
	v_add_f64_e64 v[56:57], v[138:139], -v[64:65]
	v_add_f64_e64 v[58:59], v[140:141], -v[66:67]
	v_add_f64_e64 v[60:61], v[0:1], -v[68:69]
	v_add_f64_e64 v[62:63], v[2:3], -v[70:71]
	v_add_f64_e64 v[64:65], v[4:5], -v[72:73]
	v_add_f64_e64 v[66:67], v[6:7], -v[74:75]
	v_add_f64_e64 v[68:69], v[8:9], -v[76:77]
	v_add_f64_e64 v[70:71], v[10:11], -v[78:79]
	v_add_f64_e64 v[72:73], v[24:25], -v[80:81]
	v_add_f64_e64 v[74:75], v[26:27], -v[82:83]
	v_add_f64_e64 v[76:77], v[28:29], -v[84:85]
	v_add_f64_e64 v[78:79], v[30:31], -v[86:87]
	v_add_f64_e64 v[80:81], v[32:33], -v[88:89]
	v_add_f64_e64 v[82:83], v[34:35], -v[90:91]
	v_add_f64_e64 v[84:85], v[36:37], -v[92:93]
	v_add_f64_e64 v[86:87], v[38:39], -v[94:95]
	v_add_f64_e64 v[88:89], v[40:41], -v[114:115]
	v_add_f64_e64 v[90:91], v[42:43], -v[122:123]
	v_add_f64_e64 v[92:93], v[44:45], -v[124:125]
	v_add_f64_e64 v[94:95], v[46:47], -v[126:127]
	v_add_f64_e64 v[122:123], v[48:49], -v[128:129]
	v_add_f64_e64 v[124:125], v[50:51], -v[130:131]
	v_fma_f64 v[126:127], v[134:135], 2.0, -v[52:53]
	v_fma_f64 v[128:129], v[136:137], 2.0, -v[54:55]
	;; [unrolled: 1-line block ×24, first 2 shown]
	ds_store_b128 v239, v[126:129]
	ds_store_b128 v239, v[52:55] offset:9984
	ds_store_b128 v208, v[130:133]
	ds_store_b128 v208, v[56:59] offset:9984
	;; [unrolled: 2-line block ×12, first 2 shown]
	global_wb scope:SCOPE_SE
	s_wait_dscnt 0x0
	s_barrier_signal -1
	s_barrier_wait -1
	global_inv scope:SCOPE_SE
	scratch_load_b32 v0, off, off offset:32 th:TH_LOAD_LU ; 4-byte Folded Reload
	ds_load_b128 v[8:11], v239
                                        ; implicit-def: $vgpr2_vgpr3
                                        ; implicit-def: $vgpr6_vgpr7
	s_wait_loadcnt 0x0
	v_sub_nc_u32_e32 v24, 0, v0
	s_and_saveexec_b32 s1, s0
	s_wait_alu 0xfffe
	s_xor_b32 s0, exec_lo, s1
	s_cbranch_execz .LBB0_19
; %bb.18:
	global_load_b128 v[2:5], v[96:97], off offset:19936
	ds_load_b128 v[25:28], v24 offset:19968
	s_wait_dscnt 0x0
	v_add_f64_e64 v[0:1], v[8:9], -v[25:26]
	v_add_f64_e32 v[6:7], v[10:11], v[27:28]
	v_add_f64_e64 v[10:11], v[10:11], -v[27:28]
	s_delay_alu instid0(VALU_DEP_3) | instskip(SKIP_1) | instid1(VALU_DEP_4)
	v_mul_f64_e32 v[27:28], 0.5, v[0:1]
	v_add_f64_e32 v[0:1], v[8:9], v[25:26]
	v_mul_f64_e32 v[8:9], 0.5, v[6:7]
	s_delay_alu instid0(VALU_DEP_4) | instskip(SKIP_1) | instid1(VALU_DEP_4)
	v_mul_f64_e32 v[6:7], 0.5, v[10:11]
	s_wait_loadcnt 0x0
	v_mul_f64_e32 v[10:11], v[27:28], v[4:5]
	s_delay_alu instid0(VALU_DEP_2) | instskip(NEXT) | instid1(VALU_DEP_2)
	v_fma_f64 v[25:26], v[8:9], v[4:5], v[6:7]
	v_fma_f64 v[29:30], v[0:1], 0.5, v[10:11]
	v_fma_f64 v[0:1], v[0:1], 0.5, -v[10:11]
	v_fma_f64 v[10:11], v[8:9], v[4:5], -v[6:7]
	s_delay_alu instid0(VALU_DEP_4) | instskip(NEXT) | instid1(VALU_DEP_4)
	v_fma_f64 v[6:7], -v[2:3], v[27:28], v[25:26]
	v_fma_f64 v[4:5], v[8:9], v[2:3], v[29:30]
	s_delay_alu instid0(VALU_DEP_4) | instskip(NEXT) | instid1(VALU_DEP_4)
	v_fma_f64 v[0:1], -v[8:9], v[2:3], v[0:1]
	v_fma_f64 v[2:3], -v[2:3], v[27:28], v[10:11]
                                        ; implicit-def: $vgpr8_vgpr9
.LBB0_19:
	s_wait_alu 0xfffe
	s_and_not1_saveexec_b32 s0, s0
	s_cbranch_execz .LBB0_21
; %bb.20:
	s_wait_dscnt 0x0
	v_add_f64_e32 v[4:5], v[8:9], v[10:11]
	v_add_f64_e64 v[0:1], v[8:9], -v[10:11]
	v_mov_b32_e32 v10, 0
	v_mov_b32_e32 v6, 0
	v_mov_b32_e32 v7, 0
	s_delay_alu instid0(VALU_DEP_2)
	v_mov_b32_e32 v2, v6
	ds_load_b64 v[8:9], v10 offset:9992
	v_mov_b32_e32 v3, v7
	s_wait_dscnt 0x0
	v_xor_b32_e32 v9, 0x80000000, v9
	ds_store_b64 v10, v[8:9] offset:9992
.LBB0_21:
	s_wait_alu 0xfffe
	s_or_b32 exec_lo, exec_lo, s0
	s_wait_dscnt 0x0
	s_clause 0x1
	global_load_b128 v[8:11], v[104:105], off offset:19936
	global_load_b128 v[25:28], v[102:103], off offset:19936
	ds_store_b128 v239, v[4:7]
	ds_store_b128 v24, v[0:3] offset:19968
	scratch_load_b32 v35, off, off offset:76 th:TH_LOAD_LU ; 4-byte Folded Reload
	s_wait_loadcnt 0x0
	ds_load_b128 v[0:3], v35
	ds_load_b128 v[4:7], v24 offset:19136
	s_wait_dscnt 0x0
	v_add_f64_e64 v[29:30], v[0:1], -v[4:5]
	v_add_f64_e32 v[31:32], v[2:3], v[6:7]
	v_add_f64_e64 v[2:3], v[2:3], -v[6:7]
	v_add_f64_e32 v[0:1], v[0:1], v[4:5]
	s_delay_alu instid0(VALU_DEP_4) | instskip(NEXT) | instid1(VALU_DEP_4)
	v_mul_f64_e32 v[6:7], 0.5, v[29:30]
	v_mul_f64_e32 v[29:30], 0.5, v[31:32]
	s_delay_alu instid0(VALU_DEP_4) | instskip(NEXT) | instid1(VALU_DEP_3)
	v_mul_f64_e32 v[2:3], 0.5, v[2:3]
	v_mul_f64_e32 v[4:5], v[6:7], v[10:11]
	s_delay_alu instid0(VALU_DEP_2) | instskip(SKIP_1) | instid1(VALU_DEP_3)
	v_fma_f64 v[31:32], v[29:30], v[10:11], v[2:3]
	v_fma_f64 v[10:11], v[29:30], v[10:11], -v[2:3]
	v_fma_f64 v[33:34], v[0:1], 0.5, v[4:5]
	v_fma_f64 v[4:5], v[0:1], 0.5, -v[4:5]
	s_delay_alu instid0(VALU_DEP_4) | instskip(NEXT) | instid1(VALU_DEP_4)
	v_fma_f64 v[2:3], -v[8:9], v[6:7], v[31:32]
	v_fma_f64 v[6:7], -v[8:9], v[6:7], v[10:11]
	s_delay_alu instid0(VALU_DEP_4) | instskip(NEXT) | instid1(VALU_DEP_4)
	v_fma_f64 v[0:1], v[29:30], v[8:9], v[33:34]
	v_fma_f64 v[4:5], -v[29:30], v[8:9], v[4:5]
	global_load_b128 v[8:11], v[106:107], off offset:19936
	ds_store_b128 v35, v[0:3]
	ds_store_b128 v24, v[4:7] offset:19136
	scratch_load_b32 v35, off, off offset:72 th:TH_LOAD_LU ; 4-byte Folded Reload
	s_wait_loadcnt 0x0
	ds_load_b128 v[0:3], v35
	ds_load_b128 v[4:7], v24 offset:18304
	s_wait_dscnt 0x0
	v_add_f64_e64 v[29:30], v[0:1], -v[4:5]
	v_add_f64_e32 v[31:32], v[2:3], v[6:7]
	v_add_f64_e64 v[2:3], v[2:3], -v[6:7]
	v_add_f64_e32 v[0:1], v[0:1], v[4:5]
	s_delay_alu instid0(VALU_DEP_4) | instskip(NEXT) | instid1(VALU_DEP_4)
	v_mul_f64_e32 v[6:7], 0.5, v[29:30]
	v_mul_f64_e32 v[29:30], 0.5, v[31:32]
	s_delay_alu instid0(VALU_DEP_4) | instskip(NEXT) | instid1(VALU_DEP_3)
	v_mul_f64_e32 v[2:3], 0.5, v[2:3]
	v_mul_f64_e32 v[4:5], v[6:7], v[27:28]
	s_delay_alu instid0(VALU_DEP_2) | instskip(SKIP_1) | instid1(VALU_DEP_3)
	v_fma_f64 v[31:32], v[29:30], v[27:28], v[2:3]
	v_fma_f64 v[27:28], v[29:30], v[27:28], -v[2:3]
	v_fma_f64 v[33:34], v[0:1], 0.5, v[4:5]
	v_fma_f64 v[4:5], v[0:1], 0.5, -v[4:5]
	s_delay_alu instid0(VALU_DEP_4) | instskip(NEXT) | instid1(VALU_DEP_4)
	v_fma_f64 v[2:3], -v[25:26], v[6:7], v[31:32]
	v_fma_f64 v[6:7], -v[25:26], v[6:7], v[27:28]
	s_delay_alu instid0(VALU_DEP_4) | instskip(NEXT) | instid1(VALU_DEP_4)
	v_fma_f64 v[0:1], v[29:30], v[25:26], v[33:34]
	v_fma_f64 v[4:5], -v[29:30], v[25:26], v[4:5]
	;; [unrolled: 29-line block ×5, first 2 shown]
	global_load_b128 v[8:11], v[20:21], off offset:19936
	ds_store_b128 v33, v[0:3]
	ds_store_b128 v24, v[4:7] offset:15808
	ds_load_b128 v[0:3], v113
	ds_load_b128 v[4:7], v24 offset:14976
	s_wait_dscnt 0x0
	v_add_f64_e64 v[20:21], v[0:1], -v[4:5]
	v_add_f64_e32 v[22:23], v[2:3], v[6:7]
	v_add_f64_e64 v[2:3], v[2:3], -v[6:7]
	v_add_f64_e32 v[0:1], v[0:1], v[4:5]
	s_delay_alu instid0(VALU_DEP_4) | instskip(NEXT) | instid1(VALU_DEP_4)
	v_mul_f64_e32 v[6:7], 0.5, v[20:21]
	v_mul_f64_e32 v[20:21], 0.5, v[22:23]
	s_delay_alu instid0(VALU_DEP_4) | instskip(NEXT) | instid1(VALU_DEP_3)
	v_mul_f64_e32 v[2:3], 0.5, v[2:3]
	v_mul_f64_e32 v[4:5], v[6:7], v[27:28]
	s_delay_alu instid0(VALU_DEP_2) | instskip(SKIP_1) | instid1(VALU_DEP_3)
	v_fma_f64 v[22:23], v[20:21], v[27:28], v[2:3]
	v_fma_f64 v[27:28], v[20:21], v[27:28], -v[2:3]
	v_fma_f64 v[29:30], v[0:1], 0.5, v[4:5]
	v_fma_f64 v[4:5], v[0:1], 0.5, -v[4:5]
	s_delay_alu instid0(VALU_DEP_4) | instskip(NEXT) | instid1(VALU_DEP_4)
	v_fma_f64 v[2:3], -v[25:26], v[6:7], v[22:23]
	v_fma_f64 v[6:7], -v[25:26], v[6:7], v[27:28]
	s_delay_alu instid0(VALU_DEP_4) | instskip(NEXT) | instid1(VALU_DEP_4)
	v_fma_f64 v[0:1], v[20:21], v[25:26], v[29:30]
	v_fma_f64 v[4:5], -v[20:21], v[25:26], v[4:5]
	global_load_b128 v[18:21], v[18:19], off offset:19936
	ds_store_b128 v113, v[0:3]
	ds_store_b128 v24, v[4:7] offset:14976
	ds_load_b128 v[0:3], v112
	ds_load_b128 v[4:7], v24 offset:14144
	s_wait_dscnt 0x0
	v_add_f64_e64 v[22:23], v[0:1], -v[4:5]
	v_add_f64_e32 v[25:26], v[2:3], v[6:7]
	v_add_f64_e64 v[2:3], v[2:3], -v[6:7]
	v_add_f64_e32 v[0:1], v[0:1], v[4:5]
	s_delay_alu instid0(VALU_DEP_4) | instskip(NEXT) | instid1(VALU_DEP_4)
	v_mul_f64_e32 v[6:7], 0.5, v[22:23]
	v_mul_f64_e32 v[22:23], 0.5, v[25:26]
	s_delay_alu instid0(VALU_DEP_4) | instskip(SKIP_1) | instid1(VALU_DEP_3)
	v_mul_f64_e32 v[2:3], 0.5, v[2:3]
	s_wait_loadcnt 0x1
	v_mul_f64_e32 v[4:5], v[6:7], v[10:11]
	s_delay_alu instid0(VALU_DEP_2) | instskip(SKIP_1) | instid1(VALU_DEP_3)
	v_fma_f64 v[25:26], v[22:23], v[10:11], v[2:3]
	v_fma_f64 v[10:11], v[22:23], v[10:11], -v[2:3]
	v_fma_f64 v[27:28], v[0:1], 0.5, v[4:5]
	v_fma_f64 v[4:5], v[0:1], 0.5, -v[4:5]
	s_delay_alu instid0(VALU_DEP_4) | instskip(NEXT) | instid1(VALU_DEP_4)
	v_fma_f64 v[2:3], -v[8:9], v[6:7], v[25:26]
	v_fma_f64 v[6:7], -v[8:9], v[6:7], v[10:11]
	s_delay_alu instid0(VALU_DEP_4) | instskip(NEXT) | instid1(VALU_DEP_4)
	v_fma_f64 v[0:1], v[22:23], v[8:9], v[27:28]
	v_fma_f64 v[4:5], -v[22:23], v[8:9], v[4:5]
	global_load_b128 v[8:11], v[16:17], off offset:19936
	ds_store_b128 v112, v[0:3]
	ds_store_b128 v24, v[4:7] offset:14144
	ds_load_b128 v[0:3], v111
	ds_load_b128 v[4:7], v24 offset:13312
	s_wait_dscnt 0x0
	v_add_f64_e64 v[16:17], v[0:1], -v[4:5]
	v_add_f64_e32 v[22:23], v[2:3], v[6:7]
	v_add_f64_e64 v[2:3], v[2:3], -v[6:7]
	v_add_f64_e32 v[0:1], v[0:1], v[4:5]
	s_delay_alu instid0(VALU_DEP_4) | instskip(NEXT) | instid1(VALU_DEP_4)
	v_mul_f64_e32 v[6:7], 0.5, v[16:17]
	v_mul_f64_e32 v[16:17], 0.5, v[22:23]
	s_delay_alu instid0(VALU_DEP_4) | instskip(SKIP_1) | instid1(VALU_DEP_3)
	v_mul_f64_e32 v[2:3], 0.5, v[2:3]
	s_wait_loadcnt 0x1
	;; [unrolled: 28-line block ×4, first 2 shown]
	v_mul_f64_e32 v[4:5], v[6:7], v[16:17]
	s_delay_alu instid0(VALU_DEP_2) | instskip(SKIP_1) | instid1(VALU_DEP_3)
	v_fma_f64 v[18:19], v[12:13], v[16:17], v[2:3]
	v_fma_f64 v[16:17], v[12:13], v[16:17], -v[2:3]
	v_fma_f64 v[20:21], v[0:1], 0.5, v[4:5]
	v_fma_f64 v[4:5], v[0:1], 0.5, -v[4:5]
	s_delay_alu instid0(VALU_DEP_4) | instskip(NEXT) | instid1(VALU_DEP_4)
	v_fma_f64 v[2:3], -v[14:15], v[6:7], v[18:19]
	v_fma_f64 v[6:7], -v[14:15], v[6:7], v[16:17]
	s_delay_alu instid0(VALU_DEP_4) | instskip(NEXT) | instid1(VALU_DEP_4)
	v_fma_f64 v[0:1], v[12:13], v[14:15], v[20:21]
	v_fma_f64 v[4:5], -v[12:13], v[14:15], v[4:5]
	ds_store_b128 v109, v[0:3]
	ds_store_b128 v24, v[4:7] offset:11648
	ds_load_b128 v[0:3], v108
	ds_load_b128 v[4:7], v24 offset:10816
	s_wait_dscnt 0x0
	v_add_f64_e64 v[12:13], v[0:1], -v[4:5]
	v_add_f64_e32 v[14:15], v[2:3], v[6:7]
	v_add_f64_e64 v[2:3], v[2:3], -v[6:7]
	v_add_f64_e32 v[0:1], v[0:1], v[4:5]
	s_delay_alu instid0(VALU_DEP_4) | instskip(NEXT) | instid1(VALU_DEP_4)
	v_mul_f64_e32 v[6:7], 0.5, v[12:13]
	v_mul_f64_e32 v[12:13], 0.5, v[14:15]
	s_delay_alu instid0(VALU_DEP_4) | instskip(SKIP_1) | instid1(VALU_DEP_3)
	v_mul_f64_e32 v[2:3], 0.5, v[2:3]
	s_wait_loadcnt 0x0
	v_mul_f64_e32 v[4:5], v[6:7], v[10:11]
	s_delay_alu instid0(VALU_DEP_2) | instskip(SKIP_1) | instid1(VALU_DEP_3)
	v_fma_f64 v[14:15], v[12:13], v[10:11], v[2:3]
	v_fma_f64 v[10:11], v[12:13], v[10:11], -v[2:3]
	v_fma_f64 v[16:17], v[0:1], 0.5, v[4:5]
	v_fma_f64 v[4:5], v[0:1], 0.5, -v[4:5]
	s_delay_alu instid0(VALU_DEP_4) | instskip(NEXT) | instid1(VALU_DEP_4)
	v_fma_f64 v[2:3], -v[8:9], v[6:7], v[14:15]
	v_fma_f64 v[6:7], -v[8:9], v[6:7], v[10:11]
	s_delay_alu instid0(VALU_DEP_4) | instskip(NEXT) | instid1(VALU_DEP_4)
	v_fma_f64 v[0:1], v[12:13], v[8:9], v[16:17]
	v_fma_f64 v[4:5], -v[12:13], v[8:9], v[4:5]
	ds_store_b128 v108, v[0:3]
	ds_store_b128 v24, v[4:7] offset:10816
	global_wb scope:SCOPE_SE
	s_wait_dscnt 0x0
	s_barrier_signal -1
	s_barrier_wait -1
	global_inv scope:SCOPE_SE
	s_and_saveexec_b32 s0, vcc_lo
	s_cbranch_execz .LBB0_24
; %bb.22:
	v_mul_lo_u32 v2, s3, v120
	v_mul_lo_u32 v3, s2, v121
	v_mad_co_u64_u32 v[0:1], null, s2, v120, 0
	v_dual_mov_b32 v117, 0 :: v_dual_add_nc_u32 v12, 52, v116
	v_lshlrev_b64_e32 v[10:11], 4, v[118:119]
	v_lshl_add_u32 v28, v116, 4, 0
	s_delay_alu instid0(VALU_DEP_3)
	v_dual_mov_b32 v13, v117 :: v_dual_add_nc_u32 v14, 0x68, v116
	v_add3_u32 v1, v1, v3, v2
	v_lshlrev_b64_e32 v[16:17], 4, v[116:117]
	v_dual_mov_b32 v15, v117 :: v_dual_add_nc_u32 v24, 0x9c, v116
	ds_load_b128 v[2:5], v28
	ds_load_b128 v[6:9], v28 offset:832
	v_lshlrev_b64_e32 v[0:1], 4, v[0:1]
	v_lshlrev_b64_e32 v[18:19], 4, v[12:13]
	;; [unrolled: 1-line block ×3, first 2 shown]
	v_dual_mov_b32 v25, v117 :: v_dual_add_nc_u32 v26, 0xd0, v116
	v_mov_b32_e32 v27, v117
	v_add_co_u32 v0, vcc_lo, s6, v0
	s_wait_alu 0xfffd
	v_add_co_ci_u32_e32 v1, vcc_lo, s7, v1, vcc_lo
	v_lshlrev_b64_e32 v[24:25], 4, v[24:25]
	s_delay_alu instid0(VALU_DEP_3) | instskip(SKIP_1) | instid1(VALU_DEP_3)
	v_add_co_u32 v0, vcc_lo, v0, v10
	s_wait_alu 0xfffd
	v_add_co_ci_u32_e32 v1, vcc_lo, v1, v11, vcc_lo
	s_delay_alu instid0(VALU_DEP_2) | instskip(SKIP_1) | instid1(VALU_DEP_2)
	v_add_co_u32 v22, vcc_lo, v0, v16
	s_wait_alu 0xfffd
	v_add_co_ci_u32_e32 v23, vcc_lo, v1, v17, vcc_lo
	ds_load_b128 v[10:13], v28 offset:1664
	ds_load_b128 v[14:17], v28 offset:2496
	v_add_co_u32 v18, vcc_lo, v0, v18
	s_wait_alu 0xfffd
	v_add_co_ci_u32_e32 v19, vcc_lo, v1, v19, vcc_lo
	v_add_co_u32 v20, vcc_lo, v0, v20
	s_wait_alu 0xfffd
	v_add_co_ci_u32_e32 v21, vcc_lo, v1, v21, vcc_lo
	;; [unrolled: 3-line block ×3, first 2 shown]
	s_wait_dscnt 0x3
	global_store_b128 v[22:23], v[2:5], off
	s_wait_dscnt 0x2
	global_store_b128 v[18:19], v[6:9], off
	;; [unrolled: 2-line block ×4, first 2 shown]
	v_add_nc_u32_e32 v10, 0x104, v116
	v_lshlrev_b64_e32 v[2:3], 4, v[26:27]
	v_dual_mov_b32 v11, v117 :: v_dual_add_nc_u32 v12, 0x138, v116
	v_dual_mov_b32 v13, v117 :: v_dual_add_nc_u32 v24, 0x16c, v116
	;; [unrolled: 1-line block ×3, first 2 shown]
	s_delay_alu instid0(VALU_DEP_4)
	v_add_co_u32 v18, vcc_lo, v0, v2
	s_wait_alu 0xfffd
	v_add_co_ci_u32_e32 v19, vcc_lo, v1, v3, vcc_lo
	ds_load_b128 v[2:5], v28 offset:3328
	ds_load_b128 v[6:9], v28 offset:4160
	v_lshlrev_b64_e32 v[20:21], 4, v[10:11]
	v_lshlrev_b64_e32 v[22:23], 4, v[12:13]
	ds_load_b128 v[10:13], v28 offset:4992
	ds_load_b128 v[14:17], v28 offset:5824
	v_lshlrev_b64_e32 v[24:25], 4, v[24:25]
	v_add_co_u32 v20, vcc_lo, v0, v20
	s_wait_alu 0xfffd
	v_add_co_ci_u32_e32 v21, vcc_lo, v1, v21, vcc_lo
	v_add_co_u32 v22, vcc_lo, v0, v22
	s_wait_alu 0xfffd
	v_add_co_ci_u32_e32 v23, vcc_lo, v1, v23, vcc_lo
	;; [unrolled: 3-line block ×3, first 2 shown]
	s_wait_dscnt 0x3
	global_store_b128 v[18:19], v[2:5], off
	s_wait_dscnt 0x2
	global_store_b128 v[20:21], v[6:9], off
	;; [unrolled: 2-line block ×4, first 2 shown]
	v_lshlrev_b64_e32 v[2:3], 4, v[26:27]
	v_dual_mov_b32 v11, v117 :: v_dual_add_nc_u32 v10, 0x1d4, v116
	v_dual_mov_b32 v13, v117 :: v_dual_add_nc_u32 v12, 0x208, v116
	;; [unrolled: 1-line block ×3, first 2 shown]
	s_delay_alu instid0(VALU_DEP_4)
	v_add_co_u32 v18, vcc_lo, v0, v2
	s_wait_alu 0xfffd
	v_add_co_ci_u32_e32 v19, vcc_lo, v1, v3, vcc_lo
	ds_load_b128 v[2:5], v28 offset:6656
	ds_load_b128 v[6:9], v28 offset:7488
	v_lshlrev_b64_e32 v[20:21], 4, v[10:11]
	v_lshlrev_b64_e32 v[22:23], 4, v[12:13]
	ds_load_b128 v[10:13], v28 offset:8320
	ds_load_b128 v[14:17], v28 offset:9152
	v_lshlrev_b64_e32 v[24:25], 4, v[24:25]
	v_add_nc_u32_e32 v26, 0x270, v116
	v_add_co_u32 v20, vcc_lo, v0, v20
	s_wait_alu 0xfffd
	v_add_co_ci_u32_e32 v21, vcc_lo, v1, v21, vcc_lo
	v_add_co_u32 v22, vcc_lo, v0, v22
	s_wait_alu 0xfffd
	v_add_co_ci_u32_e32 v23, vcc_lo, v1, v23, vcc_lo
	v_add_co_u32 v24, vcc_lo, v0, v24
	s_wait_alu 0xfffd
	v_add_co_ci_u32_e32 v25, vcc_lo, v1, v25, vcc_lo
	s_wait_dscnt 0x3
	global_store_b128 v[18:19], v[2:5], off
	s_wait_dscnt 0x2
	global_store_b128 v[20:21], v[6:9], off
	s_wait_dscnt 0x1
	global_store_b128 v[22:23], v[10:13], off
	s_wait_dscnt 0x0
	global_store_b128 v[24:25], v[14:17], off
	v_mov_b32_e32 v11, v117
	v_lshlrev_b64_e32 v[2:3], 4, v[26:27]
	v_dual_mov_b32 v13, v117 :: v_dual_add_nc_u32 v10, 0x2a4, v116
	v_dual_mov_b32 v25, v117 :: v_dual_add_nc_u32 v12, 0x2d8, v116
	v_add_nc_u32_e32 v24, 0x30c, v116
	s_delay_alu instid0(VALU_DEP_4)
	v_add_co_u32 v18, vcc_lo, v0, v2
	s_wait_alu 0xfffd
	v_add_co_ci_u32_e32 v19, vcc_lo, v1, v3, vcc_lo
	ds_load_b128 v[2:5], v28 offset:9984
	ds_load_b128 v[6:9], v28 offset:10816
	v_lshlrev_b64_e32 v[20:21], 4, v[10:11]
	v_lshlrev_b64_e32 v[22:23], 4, v[12:13]
	ds_load_b128 v[10:13], v28 offset:11648
	ds_load_b128 v[14:17], v28 offset:12480
	v_lshlrev_b64_e32 v[24:25], 4, v[24:25]
	v_add_nc_u32_e32 v26, 0x340, v116
	v_add_co_u32 v20, vcc_lo, v0, v20
	s_wait_alu 0xfffd
	v_add_co_ci_u32_e32 v21, vcc_lo, v1, v21, vcc_lo
	v_add_co_u32 v22, vcc_lo, v0, v22
	s_wait_alu 0xfffd
	v_add_co_ci_u32_e32 v23, vcc_lo, v1, v23, vcc_lo
	v_add_co_u32 v24, vcc_lo, v0, v24
	s_wait_alu 0xfffd
	v_add_co_ci_u32_e32 v25, vcc_lo, v1, v25, vcc_lo
	s_wait_dscnt 0x3
	global_store_b128 v[18:19], v[2:5], off
	s_wait_dscnt 0x2
	global_store_b128 v[20:21], v[6:9], off
	s_wait_dscnt 0x1
	global_store_b128 v[22:23], v[10:13], off
	s_wait_dscnt 0x0
	global_store_b128 v[24:25], v[14:17], off
	v_mov_b32_e32 v13, v117
	v_lshlrev_b64_e32 v[2:3], 4, v[26:27]
	v_dual_mov_b32 v25, v117 :: v_dual_add_nc_u32 v10, 0x374, v116
	v_dual_mov_b32 v11, v117 :: v_dual_add_nc_u32 v12, 0x3a8, v116
	v_add_nc_u32_e32 v24, 0x3dc, v116
	;; [unrolled: 34-line block ×3, first 2 shown]
	s_delay_alu instid0(VALU_DEP_4)
	v_add_co_u32 v18, vcc_lo, v0, v2
	s_wait_alu 0xfffd
	v_add_co_ci_u32_e32 v19, vcc_lo, v1, v3, vcc_lo
	ds_load_b128 v[2:5], v28 offset:16640
	ds_load_b128 v[6:9], v28 offset:17472
	v_lshlrev_b64_e32 v[20:21], 4, v[10:11]
	v_lshlrev_b64_e32 v[22:23], 4, v[12:13]
	ds_load_b128 v[10:13], v28 offset:18304
	ds_load_b128 v[14:17], v28 offset:19136
	v_lshlrev_b64_e32 v[24:25], 4, v[24:25]
	v_add_co_u32 v20, vcc_lo, v0, v20
	s_wait_alu 0xfffd
	v_add_co_ci_u32_e32 v21, vcc_lo, v1, v21, vcc_lo
	v_add_co_u32 v22, vcc_lo, v0, v22
	s_wait_alu 0xfffd
	v_add_co_ci_u32_e32 v23, vcc_lo, v1, v23, vcc_lo
	;; [unrolled: 3-line block ×3, first 2 shown]
	v_cmp_eq_u32_e32 vcc_lo, 51, v116
	s_wait_dscnt 0x3
	global_store_b128 v[18:19], v[2:5], off
	s_wait_dscnt 0x2
	global_store_b128 v[20:21], v[6:9], off
	;; [unrolled: 2-line block ×4, first 2 shown]
	s_and_b32 exec_lo, exec_lo, vcc_lo
	s_cbranch_execz .LBB0_24
; %bb.23:
	ds_load_b128 v[2:5], v117 offset:19968
	s_wait_dscnt 0x0
	global_store_b128 v[0:1], v[2:5], off offset:19968
.LBB0_24:
	s_nop 0
	s_sendmsg sendmsg(MSG_DEALLOC_VGPRS)
	s_endpgm
	.section	.rodata,"a",@progbits
	.p2align	6, 0x0
	.amdhsa_kernel fft_rtc_back_len1248_factors_2_2_13_2_3_2_2_wgs_52_tpt_52_halfLds_dp_op_CI_CI_unitstride_sbrr_R2C_dirReg
		.amdhsa_group_segment_fixed_size 0
		.amdhsa_private_segment_fixed_size 452
		.amdhsa_kernarg_size 104
		.amdhsa_user_sgpr_count 2
		.amdhsa_user_sgpr_dispatch_ptr 0
		.amdhsa_user_sgpr_queue_ptr 0
		.amdhsa_user_sgpr_kernarg_segment_ptr 1
		.amdhsa_user_sgpr_dispatch_id 0
		.amdhsa_user_sgpr_private_segment_size 0
		.amdhsa_wavefront_size32 1
		.amdhsa_uses_dynamic_stack 0
		.amdhsa_enable_private_segment 1
		.amdhsa_system_sgpr_workgroup_id_x 1
		.amdhsa_system_sgpr_workgroup_id_y 0
		.amdhsa_system_sgpr_workgroup_id_z 0
		.amdhsa_system_sgpr_workgroup_info 0
		.amdhsa_system_vgpr_workitem_id 0
		.amdhsa_next_free_vgpr 256
		.amdhsa_next_free_sgpr 46
		.amdhsa_reserve_vcc 1
		.amdhsa_float_round_mode_32 0
		.amdhsa_float_round_mode_16_64 0
		.amdhsa_float_denorm_mode_32 3
		.amdhsa_float_denorm_mode_16_64 3
		.amdhsa_fp16_overflow 0
		.amdhsa_workgroup_processor_mode 1
		.amdhsa_memory_ordered 1
		.amdhsa_forward_progress 0
		.amdhsa_round_robin_scheduling 0
		.amdhsa_exception_fp_ieee_invalid_op 0
		.amdhsa_exception_fp_denorm_src 0
		.amdhsa_exception_fp_ieee_div_zero 0
		.amdhsa_exception_fp_ieee_overflow 0
		.amdhsa_exception_fp_ieee_underflow 0
		.amdhsa_exception_fp_ieee_inexact 0
		.amdhsa_exception_int_div_zero 0
	.end_amdhsa_kernel
	.text
.Lfunc_end0:
	.size	fft_rtc_back_len1248_factors_2_2_13_2_3_2_2_wgs_52_tpt_52_halfLds_dp_op_CI_CI_unitstride_sbrr_R2C_dirReg, .Lfunc_end0-fft_rtc_back_len1248_factors_2_2_13_2_3_2_2_wgs_52_tpt_52_halfLds_dp_op_CI_CI_unitstride_sbrr_R2C_dirReg
                                        ; -- End function
	.section	.AMDGPU.csdata,"",@progbits
; Kernel info:
; codeLenInByte = 24464
; NumSgprs: 48
; NumVgprs: 256
; ScratchSize: 452
; MemoryBound: 0
; FloatMode: 240
; IeeeMode: 1
; LDSByteSize: 0 bytes/workgroup (compile time only)
; SGPRBlocks: 5
; VGPRBlocks: 31
; NumSGPRsForWavesPerEU: 48
; NumVGPRsForWavesPerEU: 256
; Occupancy: 5
; WaveLimiterHint : 1
; COMPUTE_PGM_RSRC2:SCRATCH_EN: 1
; COMPUTE_PGM_RSRC2:USER_SGPR: 2
; COMPUTE_PGM_RSRC2:TRAP_HANDLER: 0
; COMPUTE_PGM_RSRC2:TGID_X_EN: 1
; COMPUTE_PGM_RSRC2:TGID_Y_EN: 0
; COMPUTE_PGM_RSRC2:TGID_Z_EN: 0
; COMPUTE_PGM_RSRC2:TIDIG_COMP_CNT: 0
	.text
	.p2alignl 7, 3214868480
	.fill 96, 4, 3214868480
	.type	__hip_cuid_daa9bfc7c95d6a97,@object ; @__hip_cuid_daa9bfc7c95d6a97
	.section	.bss,"aw",@nobits
	.globl	__hip_cuid_daa9bfc7c95d6a97
__hip_cuid_daa9bfc7c95d6a97:
	.byte	0                               ; 0x0
	.size	__hip_cuid_daa9bfc7c95d6a97, 1

	.ident	"AMD clang version 19.0.0git (https://github.com/RadeonOpenCompute/llvm-project roc-6.4.0 25133 c7fe45cf4b819c5991fe208aaa96edf142730f1d)"
	.section	".note.GNU-stack","",@progbits
	.addrsig
	.addrsig_sym __hip_cuid_daa9bfc7c95d6a97
	.amdgpu_metadata
---
amdhsa.kernels:
  - .args:
      - .actual_access:  read_only
        .address_space:  global
        .offset:         0
        .size:           8
        .value_kind:     global_buffer
      - .offset:         8
        .size:           8
        .value_kind:     by_value
      - .actual_access:  read_only
        .address_space:  global
        .offset:         16
        .size:           8
        .value_kind:     global_buffer
      - .actual_access:  read_only
        .address_space:  global
        .offset:         24
        .size:           8
        .value_kind:     global_buffer
      - .actual_access:  read_only
        .address_space:  global
        .offset:         32
        .size:           8
        .value_kind:     global_buffer
      - .offset:         40
        .size:           8
        .value_kind:     by_value
      - .actual_access:  read_only
        .address_space:  global
        .offset:         48
        .size:           8
        .value_kind:     global_buffer
      - .actual_access:  read_only
        .address_space:  global
        .offset:         56
        .size:           8
        .value_kind:     global_buffer
      - .offset:         64
        .size:           4
        .value_kind:     by_value
      - .actual_access:  read_only
        .address_space:  global
        .offset:         72
        .size:           8
        .value_kind:     global_buffer
      - .actual_access:  read_only
        .address_space:  global
        .offset:         80
        .size:           8
        .value_kind:     global_buffer
      - .actual_access:  read_only
        .address_space:  global
        .offset:         88
        .size:           8
        .value_kind:     global_buffer
      - .actual_access:  write_only
        .address_space:  global
        .offset:         96
        .size:           8
        .value_kind:     global_buffer
    .group_segment_fixed_size: 0
    .kernarg_segment_align: 8
    .kernarg_segment_size: 104
    .language:       OpenCL C
    .language_version:
      - 2
      - 0
    .max_flat_workgroup_size: 52
    .name:           fft_rtc_back_len1248_factors_2_2_13_2_3_2_2_wgs_52_tpt_52_halfLds_dp_op_CI_CI_unitstride_sbrr_R2C_dirReg
    .private_segment_fixed_size: 452
    .sgpr_count:     48
    .sgpr_spill_count: 0
    .symbol:         fft_rtc_back_len1248_factors_2_2_13_2_3_2_2_wgs_52_tpt_52_halfLds_dp_op_CI_CI_unitstride_sbrr_R2C_dirReg.kd
    .uniform_work_group_size: 1
    .uses_dynamic_stack: false
    .vgpr_count:     256
    .vgpr_spill_count: 164
    .wavefront_size: 32
    .workgroup_processor_mode: 1
amdhsa.target:   amdgcn-amd-amdhsa--gfx1201
amdhsa.version:
  - 1
  - 2
...

	.end_amdgpu_metadata
